;; amdgpu-corpus repo=ROCm/rocFFT kind=compiled arch=gfx1201 opt=O3
	.text
	.amdgcn_target "amdgcn-amd-amdhsa--gfx1201"
	.amdhsa_code_object_version 6
	.protected	bluestein_single_fwd_len1152_dim1_half_op_CI_CI ; -- Begin function bluestein_single_fwd_len1152_dim1_half_op_CI_CI
	.globl	bluestein_single_fwd_len1152_dim1_half_op_CI_CI
	.p2align	8
	.type	bluestein_single_fwd_len1152_dim1_half_op_CI_CI,@function
bluestein_single_fwd_len1152_dim1_half_op_CI_CI: ; @bluestein_single_fwd_len1152_dim1_half_op_CI_CI
; %bb.0:
	s_load_b128 s[12:15], s[0:1], 0x28
	v_mul_u32_u24_e32 v1, 0x1c8, v0
	s_mov_b32 s2, exec_lo
	v_mov_b32_e32 v18, 0
	s_delay_alu instid0(VALU_DEP_2) | instskip(NEXT) | instid1(VALU_DEP_1)
	v_lshrrev_b32_e32 v1, 16, v1
	v_add_nc_u32_e32 v17, ttmp9, v1
	s_wait_kmcnt 0x0
	s_delay_alu instid0(VALU_DEP_1)
	v_cmpx_gt_u64_e64 s[12:13], v[17:18]
	s_cbranch_execz .LBB0_18
; %bb.1:
	s_clause 0x1
	s_load_b128 s[4:7], s[0:1], 0x18
	s_load_b128 s[8:11], s[0:1], 0x0
	v_mul_lo_u16 v1, 0x90, v1
	s_delay_alu instid0(VALU_DEP_1) | instskip(NEXT) | instid1(VALU_DEP_1)
	v_sub_nc_u16 v10, v0, v1
	v_and_b32_e32 v41, 0xffff, v10
	s_wait_kmcnt 0x0
	s_load_b128 s[16:19], s[4:5], 0x0
	s_wait_kmcnt 0x0
	v_mad_co_u64_u32 v[0:1], null, s18, v17, 0
	v_mad_co_u64_u32 v[2:3], null, s16, v41, 0
	s_mul_u64 s[2:3], s[16:17], 0x480
	s_mul_i32 s4, s17, 0xfffff4c0
	s_delay_alu instid0(SALU_CYCLE_1) | instskip(NEXT) | instid1(VALU_DEP_1)
	s_sub_co_i32 s4, s4, s16
	v_mad_co_u64_u32 v[4:5], null, s19, v17, v[1:2]
	s_delay_alu instid0(VALU_DEP_1) | instskip(NEXT) | instid1(VALU_DEP_3)
	v_dual_mov_b32 v1, v4 :: v_dual_lshlrev_b32 v48, 2, v41
	v_mad_co_u64_u32 v[5:6], null, s17, v41, v[3:4]
	s_clause 0x3
	global_load_b32 v44, v48, s[8:9]
	global_load_b32 v32, v48, s[8:9] offset:4032
	global_load_b32 v40, v48, s[8:9] offset:3456
	global_load_b32 v34, v48, s[8:9] offset:2880
	v_lshlrev_b64_e32 v[0:1], 2, v[0:1]
	v_add_nc_u32_e32 v12, 0xc00, v48
	s_clause 0x3
	global_load_b32 v43, v48, s[8:9] offset:2304
	global_load_b32 v36, v48, s[8:9] offset:1728
	;; [unrolled: 1-line block ×4, first 2 shown]
	v_mov_b32_e32 v3, v5
	v_add_nc_u32_e32 v11, 0x800, v48
	v_add_co_u32 v0, vcc_lo, s14, v0
	v_add_co_ci_u32_e32 v1, vcc_lo, s15, v1, vcc_lo
	s_delay_alu instid0(VALU_DEP_4) | instskip(NEXT) | instid1(VALU_DEP_1)
	v_lshlrev_b64_e32 v[2:3], 2, v[2:3]
	v_add_co_u32 v0, vcc_lo, v0, v2
	s_wait_alu 0xfffd
	s_delay_alu instid0(VALU_DEP_2) | instskip(NEXT) | instid1(VALU_DEP_2)
	v_add_co_ci_u32_e32 v1, vcc_lo, v1, v3, vcc_lo
	v_add_co_u32 v2, vcc_lo, v0, s2
	s_wait_alu 0xfffd
	s_delay_alu instid0(VALU_DEP_2)
	v_add_co_ci_u32_e32 v3, vcc_lo, s3, v1, vcc_lo
	global_load_b32 v6, v[0:1], off
	v_add_co_u32 v4, vcc_lo, v2, s2
	global_load_b32 v7, v[2:3], off
	s_wait_alu 0xfffd
	v_add_co_ci_u32_e32 v5, vcc_lo, s3, v3, vcc_lo
	v_add_co_u32 v0, vcc_lo, v4, s2
	s_wait_alu 0xfffd
	s_delay_alu instid0(VALU_DEP_2)
	v_add_co_ci_u32_e32 v1, vcc_lo, s3, v5, vcc_lo
	global_load_b32 v4, v[4:5], off
	v_mad_co_u64_u32 v[2:3], null, 0xfffff4c0, s16, v[0:1]
	global_load_b32 v5, v[0:1], off
	v_add_nc_u32_e32 v3, s4, v3
	global_load_b32 v8, v[2:3], off
	v_add_co_u32 v0, vcc_lo, v2, s2
	s_wait_alu 0xfffd
	v_add_co_ci_u32_e32 v1, vcc_lo, s3, v3, vcc_lo
	s_delay_alu instid0(VALU_DEP_2) | instskip(SKIP_1) | instid1(VALU_DEP_2)
	v_add_co_u32 v2, vcc_lo, v0, s2
	s_wait_alu 0xfffd
	v_add_co_ci_u32_e32 v3, vcc_lo, s3, v1, vcc_lo
	global_load_b32 v9, v[0:1], off
	v_add_co_u32 v0, vcc_lo, v2, s2
	s_wait_alu 0xfffd
	v_add_co_ci_u32_e32 v1, vcc_lo, s3, v3, vcc_lo
	global_load_b32 v2, v[2:3], off
	global_load_b32 v0, v[0:1], off
	v_add_nc_u32_e32 v3, 0x400, v48
	s_load_b128 s[4:7], s[6:7], 0x0
	s_load_b64 s[2:3], s[0:1], 0x38
	v_cmp_gt_u16_e32 vcc_lo, 0x60, v10
	s_wait_loadcnt 0xe
	v_lshrrev_b32_e32 v33, 16, v32
	v_lshrrev_b32_e32 v49, 16, v44
	s_wait_loadcnt 0xd
	v_lshrrev_b32_e32 v42, 16, v40
	s_wait_loadcnt 0xc
	;; [unrolled: 2-line block ×5, first 2 shown]
	v_lshrrev_b32_e32 v39, 16, v38
	v_lshrrev_b32_e32 v37, 16, v36
	s_wait_loadcnt 0x7
	v_lshrrev_b32_e32 v1, 16, v6
	v_mul_f16_e32 v13, v49, v6
	s_wait_loadcnt 0x6
	v_lshrrev_b32_e32 v15, 16, v7
	s_delay_alu instid0(VALU_DEP_3) | instskip(NEXT) | instid1(VALU_DEP_3)
	v_mul_f16_e32 v14, v49, v1
	v_fma_f16 v1, v44, v1, -v13
	v_mul_f16_e32 v13, v47, v7
	s_delay_alu instid0(VALU_DEP_3)
	v_fmac_f16_e32 v14, v44, v6
	v_mul_f16_e32 v6, v47, v15
	s_wait_loadcnt 0x5
	v_lshrrev_b32_e32 v16, 16, v4
	v_mul_f16_e32 v18, v45, v4
	v_fma_f16 v13, v46, v15, -v13
	v_pack_b32_f16 v1, v14, v1
	v_fmac_f16_e32 v6, v46, v7
	v_mul_f16_e32 v7, v45, v16
	v_fma_f16 v14, v43, v16, -v18
	s_wait_loadcnt 0x4
	v_lshrrev_b32_e32 v15, 16, v5
	v_mul_f16_e32 v16, v42, v5
	v_pack_b32_f16 v6, v6, v13
	v_fmac_f16_e32 v7, v43, v4
	s_delay_alu instid0(VALU_DEP_4) | instskip(NEXT) | instid1(VALU_DEP_4)
	v_mul_f16_e32 v13, v42, v15
	v_fma_f16 v15, v40, v15, -v16
	s_wait_loadcnt 0x3
	v_lshrrev_b32_e32 v4, 16, v8
	v_pack_b32_f16 v7, v7, v14
	v_mul_f16_e32 v16, v39, v8
	v_fmac_f16_e32 v13, v40, v5
	s_delay_alu instid0(VALU_DEP_4) | instskip(NEXT) | instid1(VALU_DEP_3)
	v_mul_f16_e32 v14, v39, v4
	v_fma_f16 v4, v38, v4, -v16
	s_wait_loadcnt 0x2
	v_lshrrev_b32_e32 v5, 16, v9
	s_delay_alu instid0(VALU_DEP_3) | instskip(SKIP_1) | instid1(VALU_DEP_3)
	v_fmac_f16_e32 v14, v38, v8
	v_mul_f16_e32 v16, v37, v9
	v_mul_f16_e32 v18, v37, v5
	s_wait_loadcnt 0x1
	v_lshrrev_b32_e32 v8, 16, v2
	s_wait_loadcnt 0x0
	v_lshrrev_b32_e32 v19, 16, v0
	v_mul_f16_e32 v21, v33, v0
	v_fma_f16 v5, v36, v5, -v16
	v_mul_f16_e32 v16, v35, v2
	v_mul_f16_e32 v20, v35, v8
	;; [unrolled: 1-line block ×3, first 2 shown]
	v_fmac_f16_e32 v18, v36, v9
	v_pack_b32_f16 v4, v14, v4
	v_fma_f16 v8, v34, v8, -v16
	v_fmac_f16_e32 v20, v34, v2
	v_fma_f16 v2, v32, v19, -v21
	v_fmac_f16_e32 v22, v32, v0
	v_pack_b32_f16 v0, v13, v15
	v_pack_b32_f16 v5, v18, v5
	;; [unrolled: 1-line block ×3, first 2 shown]
	v_add_co_u32 v20, s12, 0x90, v41
	v_pack_b32_f16 v2, v22, v2
	ds_store_b32 v48, v6 offset:1152
	ds_store_b32 v48, v7 offset:2304
	;; [unrolled: 1-line block ×3, first 2 shown]
	ds_store_2addr_b32 v48, v1, v4 offset1:144
	ds_store_b32 v48, v5 offset:1728
	ds_store_b32 v48, v8 offset:2880
	ds_store_b32 v48, v2 offset:4032
	global_wb scope:SCOPE_SE
	s_wait_dscnt 0x0
	s_wait_kmcnt 0x0
	s_barrier_signal -1
	s_barrier_wait -1
	global_inv scope:SCOPE_SE
	ds_load_2addr_b32 v[0:1], v48 offset1:144
	ds_load_2addr_b32 v[2:3], v3 offset0:32 offset1:176
	ds_load_2addr_b32 v[4:5], v11 offset0:64 offset1:208
	;; [unrolled: 1-line block ×3, first 2 shown]
	v_lshlrev_b16 v8, 2, v10
	s_wait_alu 0xf1ff
	v_add_co_ci_u32_e64 v9, null, 0, 0, s12
	v_lshlrev_b32_e32 v28, 4, v20
	v_add_nc_u32_e32 v11, 0x600, v48
	v_and_b32_e32 v8, 0xffff, v8
	global_wb scope:SCOPE_SE
	s_wait_dscnt 0x0
	s_barrier_signal -1
	s_barrier_wait -1
	global_inv scope:SCOPE_SE
	v_lshlrev_b32_e32 v26, 2, v8
                                        ; implicit-def: $vgpr10
	v_pk_add_f16 v5, v1, v5 neg_lo:[0,1] neg_hi:[0,1]
	v_pk_add_f16 v7, v3, v7 neg_lo:[0,1] neg_hi:[0,1]
	;; [unrolled: 1-line block ×4, first 2 shown]
	s_delay_alu instid0(VALU_DEP_4) | instskip(NEXT) | instid1(VALU_DEP_4)
	v_pk_fma_f16 v1, v1, 2.0, v5 op_sel_hi:[1,0,1] neg_lo:[0,0,1] neg_hi:[0,0,1]
	v_pk_fma_f16 v3, v3, 2.0, v7 op_sel_hi:[1,0,1] neg_lo:[0,0,1] neg_hi:[0,0,1]
	s_delay_alu instid0(VALU_DEP_4) | instskip(NEXT) | instid1(VALU_DEP_4)
	v_lshrrev_b32_e32 v16, 16, v8
	v_lshrrev_b32_e32 v15, 16, v6
	;; [unrolled: 1-line block ×4, first 2 shown]
	v_pk_fma_f16 v0, v0, 2.0, v8 op_sel_hi:[1,0,1] neg_lo:[0,0,1] neg_hi:[0,0,1]
	v_pk_fma_f16 v14, v2, 2.0, v6 op_sel_hi:[1,0,1] neg_lo:[0,0,1] neg_hi:[0,0,1]
	v_pk_add_f16 v2, v1, v3 neg_lo:[0,1] neg_hi:[0,1]
	v_sub_f16_e32 v3, v8, v15
	v_add_f16_e32 v6, v16, v6
	v_sub_f16_e32 v4, v5, v4
	v_add_f16_e32 v9, v13, v7
	v_pk_add_f16 v7, v0, v14 neg_lo:[0,1] neg_hi:[0,1]
	v_fma_f16 v15, v8, 2.0, -v3
	v_fma_f16 v16, v16, 2.0, -v6
	v_fma_f16 v14, v5, 2.0, -v4
	v_fma_f16 v13, v13, 2.0, -v9
	v_pk_fma_f16 v5, v0, 2.0, v7 op_sel_hi:[1,0,1] neg_lo:[0,0,1] neg_hi:[0,0,1]
	v_pack_b32_f16 v8, v3, v6
	v_pack_b32_f16 v6, v15, v16
	v_pk_fma_f16 v0, v1, 2.0, v2 op_sel_hi:[1,0,1] neg_lo:[0,0,1] neg_hi:[0,0,1]
	v_pack_b32_f16 v3, v4, v9
	v_pack_b32_f16 v1, v14, v13
	ds_store_b128 v26, v[5:8]
	ds_store_b128 v28, v[0:3]
	global_wb scope:SCOPE_SE
	s_wait_dscnt 0x0
	s_barrier_signal -1
	s_barrier_wait -1
	global_inv scope:SCOPE_SE
	ds_load_2addr_b32 v[0:1], v48 offset1:144
	ds_load_2addr_b32 v[7:8], v11 offset1:144
	;; [unrolled: 1-line block ×3, first 2 shown]
                                        ; kill: def $vgpr3 killed $sgpr0 killed $exec
                                        ; implicit-def: $vgpr11
	s_and_saveexec_b32 s0, vcc_lo
	s_cbranch_execz .LBB0_3
; %bb.2:
	v_add_nc_u32_e32 v2, 0x80, v48
	ds_load_b32 v10, v48 offset:4224
	ds_load_2addr_stride64_b32 v[3:4], v2 offset0:4 offset1:10
	s_wait_dscnt 0x1
	v_lshrrev_b32_e32 v11, 16, v10
	s_wait_dscnt 0x0
	v_lshrrev_b32_e32 v9, 16, v4
	v_mov_b32_e32 v2, v3
.LBB0_3:
	s_wait_alu 0xfffe
	s_or_b32 exec_lo, exec_lo, s0
	v_and_b32_e32 v50, 3, v41
	v_lshrrev_b32_e32 v12, 2, v41
	v_lshrrev_b32_e32 v13, 2, v20
	s_wait_dscnt 0x1
	v_lshrrev_b32_e32 v15, 16, v7
	s_wait_dscnt 0x0
	v_lshrrev_b32_e32 v16, 16, v5
	v_lshlrev_b32_e32 v3, 3, v50
	v_lshrrev_b32_e32 v23, 16, v8
	v_lshrrev_b32_e32 v24, 16, v6
	v_mul_u32_u24_e32 v12, 12, v12
	v_mul_u32_u24_e32 v13, 12, v13
	global_load_b64 v[18:19], v3, s[10:11]
	v_lshrrev_b32_e32 v14, 16, v0
	v_lshrrev_b32_e32 v22, 16, v1
	v_or_b32_e32 v12, v12, v50
	v_or_b32_e32 v13, v13, v50
	v_lshrrev_b32_e32 v3, 16, v2
	v_add_co_u32 v21, null, 0x120, v41
	s_delay_alu instid0(VALU_DEP_4) | instskip(NEXT) | instid1(VALU_DEP_4)
	v_lshlrev_b32_e32 v53, 2, v12
	v_lshlrev_b32_e32 v52, 2, v13
	global_wb scope:SCOPE_SE
	s_wait_loadcnt 0x0
	v_lshrrev_b32_e32 v51, 2, v21
	s_barrier_signal -1
	s_barrier_wait -1
	global_inv scope:SCOPE_SE
	v_lshrrev_b32_e32 v56, 16, v18
	v_lshrrev_b32_e32 v55, 16, v19
	s_delay_alu instid0(VALU_DEP_2) | instskip(SKIP_1) | instid1(VALU_DEP_3)
	v_mul_f16_e32 v25, v15, v56
	v_mul_f16_e32 v27, v7, v56
	;; [unrolled: 1-line block ×12, first 2 shown]
	v_fma_f16 v7, v7, v18, -v25
	v_fmac_f16_e32 v27, v15, v18
	v_fma_f16 v15, v5, v19, -v29
	v_fmac_f16_e32 v30, v16, v19
	;; [unrolled: 2-line block ×6, first 2 shown]
	v_add_f16_e32 v10, v7, v15
	v_sub_f16_e32 v11, v27, v30
	v_add_f16_e32 v23, v14, v27
	v_add_f16_e32 v24, v27, v30
	;; [unrolled: 1-line block ×3, first 2 shown]
	v_sub_f16_e32 v29, v54, v58
	v_add_f16_e32 v31, v22, v54
	v_add_f16_e32 v54, v54, v58
	;; [unrolled: 1-line block ×3, first 2 shown]
	v_sub_f16_e32 v25, v7, v15
	v_add_f16_e32 v7, v1, v8
	v_sub_f16_e32 v57, v8, v16
	v_add_f16_e32 v59, v5, v4
	v_add_f16_e32 v60, v13, v12
	v_fma_f16 v10, -0.5, v10, v0
	v_fmac_f16_e32 v14, -0.5, v24
	v_fmac_f16_e32 v1, -0.5, v27
	;; [unrolled: 1-line block ×3, first 2 shown]
	v_sub_f16_e32 v6, v13, v12
	v_sub_f16_e32 v8, v5, v4
	v_add_f16_e32 v9, v9, v15
	v_add_f16_e32 v15, v23, v30
	v_add_f16_e32 v16, v7, v16
	v_fma_f16 v0, -0.5, v59, v2
	v_fma_f16 v7, -0.5, v60, v3
	v_fmamk_f16 v24, v11, 0x3aee, v10
	v_fmac_f16_e32 v10, 0xbaee, v11
	v_fmamk_f16 v11, v25, 0xbaee, v14
	v_fmac_f16_e32 v14, 0x3aee, v25
	;; [unrolled: 2-line block ×3, first 2 shown]
	v_fmamk_f16 v29, v57, 0xbaee, v22
	v_add_f16_e32 v23, v31, v58
	v_fmac_f16_e32 v22, 0x3aee, v57
	v_fmamk_f16 v27, v6, 0xbaee, v0
	v_pack_b32_f16 v9, v9, v15
	v_pack_b32_f16 v11, v24, v11
	;; [unrolled: 1-line block ×4, first 2 shown]
	v_fmamk_f16 v29, v8, 0x3aee, v7
	v_pack_b32_f16 v15, v16, v23
	v_pack_b32_f16 v1, v1, v22
	ds_store_2addr_b32 v53, v9, v11 offset1:4
	ds_store_b32 v53, v10 offset:32
	ds_store_2addr_b32 v52, v15, v14 offset1:4
	ds_store_b32 v52, v1 offset:32
	s_and_saveexec_b32 s0, vcc_lo
	s_cbranch_execz .LBB0_5
; %bb.4:
	v_mul_f16_e32 v1, 0x3aee, v8
	v_add_f16_e32 v3, v3, v13
	v_mul_u32_u24_e32 v8, 12, v51
	v_add_f16_e32 v2, v2, v5
	v_mul_f16_e32 v5, 0x3aee, v6
	v_sub_f16_e32 v1, v7, v1
	v_add_f16_e32 v3, v3, v12
	v_or_b32_e32 v6, v8, v50
	v_add_f16_e32 v2, v2, v4
	v_add_f16_e32 v0, v5, v0
	s_delay_alu instid0(VALU_DEP_3) | instskip(NEXT) | instid1(VALU_DEP_3)
	v_lshlrev_b32_e32 v4, 2, v6
	v_pack_b32_f16 v2, v2, v3
	s_delay_alu instid0(VALU_DEP_3)
	v_pack_b32_f16 v0, v0, v1
	v_perm_b32 v1, v29, v27, 0x5040100
	ds_store_2addr_b32 v4, v2, v0 offset1:4
	ds_store_b32 v4, v1 offset:32
.LBB0_5:
	s_wait_alu 0xfffe
	s_or_b32 exec_lo, exec_lo, s0
	v_and_b32_e32 v0, 0xff, v41
	global_wb scope:SCOPE_SE
	s_wait_dscnt 0x0
	s_barrier_signal -1
	s_barrier_wait -1
	global_inv scope:SCOPE_SE
	v_mul_lo_u16 v0, 0xab, v0
	v_add_nc_u32_e32 v6, 0x400, v48
	v_add_nc_u32_e32 v11, 0x800, v48
	;; [unrolled: 1-line block ×4, first 2 shown]
	v_lshrrev_b16 v15, 11, v0
	s_delay_alu instid0(VALU_DEP_1) | instskip(SKIP_1) | instid1(VALU_DEP_2)
	v_mul_lo_u16 v0, v15, 12
	v_and_b32_e32 v15, 0xffff, v15
	v_sub_nc_u16 v0, v41, v0
	s_delay_alu instid0(VALU_DEP_2) | instskip(NEXT) | instid1(VALU_DEP_2)
	v_mul_u32_u24_e32 v15, 0x60, v15
	v_and_b32_e32 v16, 0xff, v0
	s_delay_alu instid0(VALU_DEP_1) | instskip(NEXT) | instid1(VALU_DEP_3)
	v_mad_co_u64_u32 v[4:5], null, v16, 28, s[10:11]
	v_or_b32_e32 v15, v15, v16
	s_clause 0x1
	global_load_b128 v[0:3], v[4:5], off offset:32
	global_load_b96 v[8:10], v[4:5], off offset:48
	ds_load_2addr_b32 v[4:5], v48 offset1:144
	ds_load_2addr_b32 v[6:7], v6 offset0:32 offset1:176
	ds_load_2addr_b32 v[11:12], v11 offset0:64 offset1:208
	;; [unrolled: 1-line block ×3, first 2 shown]
	v_lshlrev_b32_e32 v54, 2, v15
	global_wb scope:SCOPE_SE
	s_wait_loadcnt_dscnt 0x0
	s_barrier_signal -1
	s_barrier_wait -1
	global_inv scope:SCOPE_SE
	v_lshrrev_b32_e32 v30, 16, v6
	v_lshrrev_b32_e32 v25, 16, v5
	;; [unrolled: 1-line block ×15, first 2 shown]
	v_mul_f16_e32 v15, v25, v64
	v_mul_f16_e32 v67, v5, v64
	;; [unrolled: 1-line block ×14, first 2 shown]
	v_fma_f16 v5, v5, v0, -v15
	v_fmac_f16_e32 v67, v25, v0
	v_fma_f16 v6, v6, v1, -v68
	v_fmac_f16_e32 v69, v30, v1
	;; [unrolled: 2-line block ×7, first 2 shown]
	v_sub_f16_e32 v11, v4, v11
	v_sub_f16_e32 v15, v24, v73
	;; [unrolled: 1-line block ×8, first 2 shown]
	v_fma_f16 v4, v4, 2.0, -v11
	v_fma_f16 v24, v24, 2.0, -v15
	;; [unrolled: 1-line block ×8, first 2 shown]
	v_sub_f16_e32 v16, v11, v16
	v_add_f16_e32 v13, v15, v13
	v_sub_f16_e32 v66, v12, v30
	v_add_f16_e32 v14, v25, v14
	v_sub_f16_e32 v67, v4, v6
	v_sub_f16_e32 v68, v24, v31
	v_fma_f16 v11, v11, 2.0, -v16
	v_fma_f16 v15, v15, 2.0, -v13
	v_sub_f16_e32 v30, v5, v7
	v_sub_f16_e32 v6, v59, v65
	v_fma_f16 v12, v12, 2.0, -v66
	v_fma_f16 v25, v25, 2.0, -v14
	v_fmamk_f16 v7, v66, 0x39a8, v16
	v_fmamk_f16 v31, v14, 0x39a8, v13
	v_fma_f16 v4, v4, 2.0, -v67
	v_fma_f16 v24, v24, 2.0, -v68
	;; [unrolled: 1-line block ×4, first 2 shown]
	v_fmamk_f16 v65, v12, 0xb9a8, v11
	v_fmamk_f16 v69, v25, 0xb9a8, v15
	v_sub_f16_e32 v6, v67, v6
	v_add_f16_e32 v30, v68, v30
	v_fmac_f16_e32 v7, 0xb9a8, v14
	v_fmac_f16_e32 v31, 0x39a8, v66
	v_sub_f16_e32 v5, v4, v5
	v_sub_f16_e32 v14, v24, v59
	v_fmac_f16_e32 v65, 0xb9a8, v25
	v_fmac_f16_e32 v69, 0x39a8, v12
	v_fma_f16 v12, v67, 2.0, -v6
	v_fma_f16 v25, v68, 2.0, -v30
	;; [unrolled: 1-line block ×8, first 2 shown]
	v_pack_b32_f16 v59, v6, v30
	v_pack_b32_f16 v66, v7, v31
	;; [unrolled: 1-line block ×8, first 2 shown]
	ds_store_2addr_b32 v54, v59, v66 offset0:72 offset1:84
	ds_store_2addr_b32 v54, v12, v13 offset0:24 offset1:36
	;; [unrolled: 1-line block ×3, first 2 shown]
	ds_store_2addr_b32 v54, v4, v11 offset1:12
	global_wb scope:SCOPE_SE
	s_wait_dscnt 0x0
	s_barrier_signal -1
	s_barrier_wait -1
	global_inv scope:SCOPE_SE
	ds_load_2addr_b32 v[11:12], v48 offset1:144
	ds_load_2addr_b32 v[15:16], v23 offset1:144
	;; [unrolled: 1-line block ×3, first 2 shown]
	v_add_co_u32 v4, s0, s8, v48
	s_wait_alu 0xf1ff
	v_add_co_ci_u32_e64 v5, null, s9, 0, s0
	s_and_saveexec_b32 s0, vcc_lo
	s_cbranch_execz .LBB0_7
; %bb.6:
	v_add_nc_u32_e32 v6, 0x80, v48
	ds_load_2addr_stride64_b32 v[6:7], v6 offset0:4 offset1:10
	ds_load_b32 v27, v48 offset:4224
	s_wait_dscnt 0x1
	v_lshrrev_b32_e32 v30, 16, v6
	v_lshrrev_b32_e32 v31, 16, v7
	s_wait_dscnt 0x0
	v_lshrrev_b32_e32 v29, 16, v27
.LBB0_7:
	s_wait_alu 0xfffe
	s_or_b32 exec_lo, exec_lo, s0
	v_add_co_u32 v22, s0, 0xffffffa0, v41
	s_wait_alu 0xf1ff
	v_add_co_ci_u32_e64 v23, null, 0, -1, s0
	s_delay_alu instid0(VALU_DEP_2) | instskip(SKIP_2) | instid1(VALU_DEP_3)
	v_dual_cndmask_b32 v65, v22, v41 :: v_dual_and_b32 v24, 0xffff, v20
	s_wait_dscnt 0x0
	v_lshrrev_b32_e32 v71, 16, v13
	v_cndmask_b32_e64 v66, v23, 0, vcc_lo
	v_and_b32_e32 v23, 0xffff, v21
	v_mul_u32_u24_e32 v24, 0xaaab, v24
	v_lshrrev_b32_e32 v70, 16, v11
	v_lshrrev_b32_e32 v73, 16, v16
	;; [unrolled: 1-line block ×3, first 2 shown]
	v_mul_u32_u24_e32 v25, 0xaaab, v23
	v_lshrrev_b32_e32 v59, 22, v24
	v_lshlrev_b64_e32 v[22:23], 3, v[65:66]
	v_lshrrev_b32_e32 v72, 16, v12
	s_delay_alu instid0(VALU_DEP_4) | instskip(NEXT) | instid1(VALU_DEP_4)
	v_lshrrev_b32_e32 v24, 22, v25
	v_mul_lo_u16 v25, 0x60, v59
	s_delay_alu instid0(VALU_DEP_4) | instskip(NEXT) | instid1(VALU_DEP_3)
	v_add_co_u32 v22, s0, s10, v22
	v_mul_lo_u16 v66, 0x60, v24
	s_delay_alu instid0(VALU_DEP_3) | instskip(SKIP_2) | instid1(VALU_DEP_3)
	v_sub_nc_u16 v68, v20, v25
	s_wait_alu 0xf1ff
	v_add_co_ci_u32_e64 v23, s0, s11, v23, s0
	v_sub_nc_u16 v69, v21, v66
	s_delay_alu instid0(VALU_DEP_3) | instskip(SKIP_4) | instid1(VALU_DEP_3)
	v_lshlrev_b16 v20, 3, v68
	global_load_b64 v[24:25], v[22:23], off offset:368
	v_mad_u16 v59, 0x120, v59, v68
	v_lshlrev_b16 v21, 3, v69
	v_and_b32_e32 v20, 0xffff, v20
	v_and_b32_e32 v68, 0xffff, v59
	;; [unrolled: 1-line block ×3, first 2 shown]
	s_delay_alu instid0(VALU_DEP_4) | instskip(NEXT) | instid1(VALU_DEP_4)
	v_and_b32_e32 v22, 0xffff, v21
	v_add_co_u32 v20, s0, s10, v20
	s_wait_alu 0xf1ff
	v_add_co_ci_u32_e64 v21, null, s11, 0, s0
	s_delay_alu instid0(VALU_DEP_3)
	v_add_co_u32 v66, s0, s10, v22
	s_wait_alu 0xf1ff
	v_add_co_ci_u32_e64 v67, null, s11, 0, s0
	v_cmp_lt_u16_e64 s0, 0x5f, v41
	s_clause 0x1
	global_load_b64 v[22:23], v[20:21], off offset:368
	global_load_b64 v[20:21], v[66:67], off offset:368
	v_lshrrev_b32_e32 v67, 16, v15
	global_wb scope:SCOPE_SE
	s_wait_loadcnt 0x0
	s_wait_alu 0xf1ff
	v_cndmask_b32_e64 v66, 0, 0x120, s0
	s_barrier_signal -1
	s_barrier_wait -1
	global_inv scope:SCOPE_SE
	v_add_lshl_u32 v65, v65, v66, 2
	v_lshlrev_b32_e32 v66, 2, v68
	v_lshrrev_b32_e32 v75, 16, v24
	v_lshrrev_b32_e32 v76, 16, v25
	s_delay_alu instid0(VALU_DEP_2) | instskip(SKIP_1) | instid1(VALU_DEP_3)
	v_mul_f16_e32 v68, v67, v75
	v_mul_f16_e32 v69, v15, v75
	;; [unrolled: 1-line block ×4, first 2 shown]
	s_delay_alu instid0(VALU_DEP_4) | instskip(NEXT) | instid1(VALU_DEP_4)
	v_fma_f16 v15, v15, v24, -v68
	v_fmac_f16_e32 v69, v67, v24
	s_delay_alu instid0(VALU_DEP_4) | instskip(NEXT) | instid1(VALU_DEP_4)
	v_fma_f16 v13, v13, v25, -v77
	v_fmac_f16_e32 v79, v71, v25
	s_delay_alu instid0(VALU_DEP_4) | instskip(NEXT) | instid1(VALU_DEP_4)
	v_add_f16_e32 v71, v11, v15
	v_add_f16_e32 v82, v70, v69
	s_delay_alu instid0(VALU_DEP_4) | instskip(NEXT) | instid1(VALU_DEP_4)
	v_add_f16_e32 v80, v15, v13
	v_sub_f16_e32 v81, v69, v79
	v_add_f16_e32 v69, v69, v79
	v_lshrrev_b32_e32 v78, 16, v22
	v_lshrrev_b32_e32 v77, 16, v23
	;; [unrolled: 1-line block ×4, first 2 shown]
	v_sub_f16_e32 v15, v15, v13
	v_fma_f16 v80, -0.5, v80, v11
	v_add_f16_e32 v79, v82, v79
	v_fmac_f16_e32 v70, -0.5, v69
	v_mul_f16_e32 v69, v73, v78
	v_mul_f16_e32 v82, v16, v78
	;; [unrolled: 1-line block ×4, first 2 shown]
	v_add_f16_e32 v71, v71, v13
	v_mul_f16_e32 v85, v31, v68
	v_mul_f16_e32 v13, v7, v68
	;; [unrolled: 1-line block ×4, first 2 shown]
	v_fmamk_f16 v87, v81, 0x3aee, v80
	v_fmac_f16_e32 v80, 0xbaee, v81
	v_fmamk_f16 v81, v15, 0xbaee, v70
	v_fmac_f16_e32 v70, 0x3aee, v15
	v_fma_f16 v15, v16, v22, -v69
	v_fmac_f16_e32 v82, v73, v22
	v_fma_f16 v16, v14, v23, -v83
	;; [unrolled: 2-line block ×4, first 2 shown]
	v_fmac_f16_e32 v11, v29, v21
	v_pack_b32_f16 v71, v71, v79
	v_pack_b32_f16 v69, v80, v70
	v_add_f16_e32 v70, v15, v16
	v_add_f16_e32 v79, v82, v84
	v_pack_b32_f16 v31, v87, v81
	v_add_f16_e32 v29, v12, v15
	v_sub_f16_e32 v73, v82, v84
	v_add_f16_e32 v74, v72, v82
	v_add_f16_e32 v81, v14, v7
	;; [unrolled: 1-line block ×3, first 2 shown]
	v_sub_f16_e32 v80, v15, v16
	v_fmac_f16_e32 v12, -0.5, v70
	v_fmac_f16_e32 v72, -0.5, v79
	v_sub_f16_e32 v15, v13, v11
	v_sub_f16_e32 v27, v14, v7
	v_add_f16_e32 v70, v29, v16
	v_fma_f16 v16, -0.5, v81, v6
	v_fma_f16 v29, -0.5, v82, v30
	v_add_f16_e32 v74, v74, v84
	v_fmamk_f16 v81, v73, 0x3aee, v12
	v_fmac_f16_e32 v12, 0xbaee, v73
	v_fmamk_f16 v73, v80, 0xbaee, v72
	v_fmac_f16_e32 v72, 0x3aee, v80
	v_fmamk_f16 v79, v15, 0xbaee, v16
	v_fmamk_f16 v80, v27, 0x3aee, v29
	v_pack_b32_f16 v70, v70, v74
	v_pack_b32_f16 v73, v81, v73
	v_pack_b32_f16 v12, v12, v72
	ds_store_2addr_b32 v65, v71, v31 offset1:96
	ds_store_b32 v65, v69 offset:768
	ds_store_2addr_b32 v66, v70, v73 offset1:96
	ds_store_b32 v66, v12 offset:768
	s_and_saveexec_b32 s0, vcc_lo
	s_cbranch_execz .LBB0_9
; %bb.8:
	v_mul_f16_e32 v12, 0x3aee, v27
	v_add_f16_e32 v13, v30, v13
	v_add_f16_e32 v6, v6, v14
	v_mul_f16_e32 v14, 0x3aee, v15
	s_delay_alu instid0(VALU_DEP_4) | instskip(NEXT) | instid1(VALU_DEP_4)
	v_sub_f16_e32 v12, v29, v12
	v_add_f16_e32 v11, v13, v11
	s_delay_alu instid0(VALU_DEP_4) | instskip(NEXT) | instid1(VALU_DEP_4)
	v_add_f16_e32 v6, v6, v7
	v_add_f16_e32 v7, v14, v16
	v_lshlrev_b32_e32 v13, 2, v59
	s_delay_alu instid0(VALU_DEP_3) | instskip(NEXT) | instid1(VALU_DEP_3)
	v_pack_b32_f16 v6, v6, v11
	v_pack_b32_f16 v7, v7, v12
	s_delay_alu instid0(VALU_DEP_3)
	v_add_nc_u32_e32 v11, 0xc00, v13
	v_perm_b32 v12, v80, v79, 0x5040100
	ds_store_2addr_b32 v11, v6, v7 offset0:96 offset1:192
	ds_store_b32 v13, v12 offset:4224
.LBB0_9:
	s_wait_alu 0xfffe
	s_or_b32 exec_lo, exec_lo, s0
	v_mad_co_u64_u32 v[6:7], null, v41, 12, s[10:11]
	global_wb scope:SCOPE_SE
	s_wait_dscnt 0x0
	s_barrier_signal -1
	s_barrier_wait -1
	global_inv scope:SCOPE_SE
	v_add_nc_u32_e32 v27, 0x400, v48
	v_add_nc_u32_e32 v31, 0x800, v48
	s_clause 0x1
	global_load_b96 v[14:16], v[6:7], off offset:1136
	global_load_b96 v[11:13], v[6:7], off offset:2864
	v_add_nc_u32_e32 v86, 0xc00, v48
	ds_load_2addr_b32 v[6:7], v48 offset1:144
	ds_load_2addr_b32 v[29:30], v27 offset0:32 offset1:176
	ds_load_2addr_b32 v[81:82], v31 offset0:64 offset1:208
	ds_load_2addr_b32 v[83:84], v86 offset0:96 offset1:240
	s_add_nc_u64 s[0:1], s[8:9], 0x1200
	s_wait_dscnt 0x3
	v_lshrrev_b32_e32 v85, 16, v6
	s_wait_dscnt 0x2
	v_lshrrev_b32_e32 v88, 16, v29
	;; [unrolled: 2-line block ×4, first 2 shown]
	v_lshrrev_b32_e32 v91, 16, v30
	v_lshrrev_b32_e32 v92, 16, v82
	;; [unrolled: 1-line block ×4, first 2 shown]
	s_wait_loadcnt 0x1
	v_lshrrev_b32_e32 v74, 16, v14
	v_lshrrev_b32_e32 v73, 16, v15
	;; [unrolled: 1-line block ×3, first 2 shown]
	s_wait_loadcnt 0x0
	v_lshrrev_b32_e32 v71, 16, v11
	v_lshrrev_b32_e32 v70, 16, v12
	;; [unrolled: 1-line block ×3, first 2 shown]
	v_mul_f16_e32 v94, v88, v74
	v_mul_f16_e32 v95, v29, v74
	;; [unrolled: 1-line block ×12, first 2 shown]
	v_fma_f16 v29, v29, v14, -v94
	v_fmac_f16_e32 v95, v88, v14
	v_fma_f16 v81, v81, v15, -v96
	v_fmac_f16_e32 v97, v89, v15
	;; [unrolled: 2-line block ×6, first 2 shown]
	v_sub_f16_e32 v81, v6, v81
	v_sub_f16_e32 v88, v85, v97
	;; [unrolled: 1-line block ×8, first 2 shown]
	v_fma_f16 v6, v6, 2.0, -v81
	v_fma_f16 v85, v85, 2.0, -v88
	;; [unrolled: 1-line block ×8, first 2 shown]
	v_sub_f16_e32 v89, v81, v89
	v_add_f16_e32 v83, v88, v83
	v_sub_f16_e32 v29, v6, v29
	v_sub_f16_e32 v92, v85, v92
	;; [unrolled: 1-line block ×5, first 2 shown]
	v_add_f16_e32 v84, v90, v84
	v_fma_f16 v81, v81, 2.0, -v89
	v_fma_f16 v88, v88, 2.0, -v83
	;; [unrolled: 1-line block ×8, first 2 shown]
	v_pack_b32_f16 v81, v81, v88
	v_pack_b32_f16 v29, v29, v92
	;; [unrolled: 1-line block ×8, first 2 shown]
	ds_store_b32 v48, v81 offset:1152
	ds_store_b32 v48, v29 offset:2304
	;; [unrolled: 1-line block ×3, first 2 shown]
	ds_store_2addr_b32 v48, v6, v7 offset1:144
	ds_store_b32 v48, v82 offset:1728
	ds_store_b32 v48, v30 offset:2880
	;; [unrolled: 1-line block ×3, first 2 shown]
	global_wb scope:SCOPE_SE
	s_wait_dscnt 0x0
	s_barrier_signal -1
	s_barrier_wait -1
	global_inv scope:SCOPE_SE
	global_load_b32 v6, v[4:5], off offset:4608
	v_lshlrev_b32_e32 v4, 2, v41
	s_clause 0x6
	global_load_b32 v83, v4, s[0:1] offset:4032
	global_load_b32 v84, v4, s[0:1] offset:2880
	;; [unrolled: 1-line block ×7, first 2 shown]
	ds_load_2addr_b32 v[4:5], v48 offset1:144
	v_add_nc_u32_e32 v92, 0x200, v48
	v_add_nc_u32_e32 v93, 0x600, v48
	;; [unrolled: 1-line block ×3, first 2 shown]
	s_wait_dscnt 0x0
	v_lshrrev_b32_e32 v7, 16, v4
	s_wait_loadcnt 0x6
	v_lshrrev_b32_e32 v98, 16, v83
	v_lshrrev_b32_e32 v29, 16, v6
	s_wait_loadcnt 0x3
	v_lshrrev_b32_e32 v91, 16, v87
	s_wait_loadcnt 0x2
	;; [unrolled: 2-line block ×3, first 2 shown]
	v_lshrrev_b32_e32 v97, 16, v89
	v_mul_f16_e32 v30, v7, v29
	v_mul_f16_e32 v29, v4, v29
	s_delay_alu instid0(VALU_DEP_2) | instskip(NEXT) | instid1(VALU_DEP_2)
	v_fma_f16 v4, v4, v6, -v30
	v_fmac_f16_e32 v29, v7, v6
	s_delay_alu instid0(VALU_DEP_1)
	v_pack_b32_f16 v4, v4, v29
	ds_store_b32 v48, v4
	ds_load_2addr_b32 v[6:7], v27 offset0:32 offset1:176
	ds_load_2addr_b32 v[29:30], v31 offset0:64 offset1:208
	;; [unrolled: 1-line block ×3, first 2 shown]
	v_lshrrev_b32_e32 v4, 16, v5
	s_delay_alu instid0(VALU_DEP_1) | instskip(SKIP_1) | instid1(VALU_DEP_2)
	v_mul_f16_e32 v94, v4, v91
	v_mul_f16_e32 v91, v5, v91
	v_fma_f16 v5, v5, v87, -v94
	s_delay_alu instid0(VALU_DEP_2)
	v_fmac_f16_e32 v91, v4, v87
	v_lshrrev_b32_e32 v87, 16, v85
	s_wait_loadcnt 0x0
	v_lshrrev_b32_e32 v4, 16, v90
	v_lshrrev_b32_e32 v94, 16, v84
	v_pack_b32_f16 v5, v5, v91
	s_wait_dscnt 0x2
	v_lshrrev_b32_e32 v91, 16, v6
	v_mul_f16_e32 v99, v6, v96
	s_wait_dscnt 0x1
	v_lshrrev_b32_e32 v100, 16, v29
	v_lshrrev_b32_e32 v104, 16, v7
	s_wait_dscnt 0x0
	v_lshrrev_b32_e32 v102, 16, v81
	v_lshrrev_b32_e32 v106, 16, v30
	;; [unrolled: 1-line block ×3, first 2 shown]
	v_mul_f16_e32 v96, v91, v96
	v_mul_f16_e32 v101, v29, v97
	;; [unrolled: 1-line block ×3, first 2 shown]
	v_fmac_f16_e32 v99, v91, v88
	v_mul_f16_e32 v91, v100, v97
	v_mul_f16_e32 v87, v104, v87
	;; [unrolled: 1-line block ×8, first 2 shown]
	v_fma_f16 v6, v6, v88, -v96
	v_fmac_f16_e32 v101, v100, v89
	v_fmac_f16_e32 v105, v104, v85
	v_fma_f16 v29, v29, v89, -v91
	v_fma_f16 v7, v7, v85, -v87
	v_fmac_f16_e32 v103, v102, v90
	v_fmac_f16_e32 v107, v106, v84
	v_fma_f16 v4, v81, v90, -v4
	v_fma_f16 v30, v30, v84, -v94
	v_fmac_f16_e32 v109, v108, v83
	v_fma_f16 v81, v82, v83, -v97
	v_pack_b32_f16 v6, v6, v99
	v_pack_b32_f16 v29, v29, v101
	;; [unrolled: 1-line block ×6, first 2 shown]
	ds_store_2addr_b32 v92, v5, v6 offset0:16 offset1:160
	ds_store_2addr_b32 v93, v7, v29 offset0:48 offset1:192
	;; [unrolled: 1-line block ×3, first 2 shown]
	ds_store_b32 v48, v81 offset:4032
	global_wb scope:SCOPE_SE
	s_wait_dscnt 0x0
	s_barrier_signal -1
	s_barrier_wait -1
	global_inv scope:SCOPE_SE
	ds_load_2addr_b32 v[4:5], v48 offset1:144
	ds_load_2addr_b32 v[6:7], v27 offset0:32 offset1:176
	ds_load_2addr_b32 v[29:30], v31 offset0:64 offset1:208
	;; [unrolled: 1-line block ×3, first 2 shown]
	global_wb scope:SCOPE_SE
	s_wait_dscnt 0x0
	s_barrier_signal -1
	s_barrier_wait -1
	global_inv scope:SCOPE_SE
	v_pk_add_f16 v30, v5, v30 neg_lo:[0,1] neg_hi:[0,1]
	v_pk_add_f16 v31, v7, v82 neg_lo:[0,1] neg_hi:[0,1]
	;; [unrolled: 1-line block ×4, first 2 shown]
	s_delay_alu instid0(VALU_DEP_4) | instskip(NEXT) | instid1(VALU_DEP_4)
	v_pk_fma_f16 v5, v5, 2.0, v30 op_sel_hi:[1,0,1] neg_lo:[0,0,1] neg_hi:[0,0,1]
	v_pk_fma_f16 v7, v7, 2.0, v31 op_sel_hi:[1,0,1] neg_lo:[0,0,1] neg_hi:[0,0,1]
	v_lshrrev_b32_e32 v83, 16, v30
	s_delay_alu instid0(VALU_DEP_4)
	v_lshrrev_b32_e32 v85, 16, v82
	v_lshrrev_b32_e32 v87, 16, v29
	;; [unrolled: 1-line block ×3, first 2 shown]
	v_pk_fma_f16 v4, v4, 2.0, v29 op_sel_hi:[1,0,1] neg_lo:[0,0,1] neg_hi:[0,0,1]
	v_pk_fma_f16 v84, v6, 2.0, v82 op_sel_hi:[1,0,1] neg_lo:[0,0,1] neg_hi:[0,0,1]
	v_pk_add_f16 v6, v5, v7 neg_lo:[0,1] neg_hi:[0,1]
	v_sub_f16_e32 v81, v83, v31
	v_add_f16_e32 v7, v29, v85
	v_sub_f16_e32 v31, v87, v82
	v_add_f16_e32 v27, v30, v27
	v_pk_add_f16 v84, v4, v84 neg_lo:[0,1] neg_hi:[0,1]
	v_fma_f16 v88, v83, 2.0, -v81
	v_fma_f16 v29, v29, 2.0, -v7
	;; [unrolled: 1-line block ×4, first 2 shown]
	v_pk_fma_f16 v82, v4, 2.0, v84 op_sel_hi:[1,0,1] neg_lo:[0,0,1] neg_hi:[0,0,1]
	v_pack_b32_f16 v85, v7, v31
	v_pk_fma_f16 v4, v5, 2.0, v6 op_sel_hi:[1,0,1] neg_lo:[0,0,1] neg_hi:[0,0,1]
	v_pack_b32_f16 v83, v29, v83
	v_pack_b32_f16 v7, v27, v81
	;; [unrolled: 1-line block ×3, first 2 shown]
	ds_store_b128 v26, v[82:85]
	ds_store_b128 v28, v[4:7]
	global_wb scope:SCOPE_SE
	s_wait_dscnt 0x0
	s_barrier_signal -1
	s_barrier_wait -1
	global_inv scope:SCOPE_SE
	ds_load_2addr_b32 v[4:5], v48 offset1:144
	ds_load_2addr_b32 v[30:31], v93 offset1:144
	;; [unrolled: 1-line block ×3, first 2 shown]
	s_and_saveexec_b32 s0, vcc_lo
	s_cbranch_execz .LBB0_11
; %bb.10:
	v_add_nc_u32_e32 v6, 0x80, v48
	ds_load_b32 v79, v48 offset:4224
	ds_load_2addr_stride64_b32 v[26:27], v6 offset0:4 offset1:10
	s_wait_dscnt 0x1
	v_lshrrev_b32_e32 v80, 16, v79
	s_wait_dscnt 0x0
	v_lshrrev_b32_e32 v81, 16, v27
	v_mov_b32_e32 v6, v26
.LBB0_11:
	s_wait_alu 0xfffe
	s_or_b32 exec_lo, exec_lo, s0
	s_wait_dscnt 0x0
	v_lshrrev_b32_e32 v26, 16, v28
	v_lshrrev_b32_e32 v7, 16, v30
	v_mul_f16_e32 v89, v55, v28
	v_lshrrev_b32_e32 v84, 16, v31
	v_lshrrev_b32_e32 v86, 16, v29
	v_mul_f16_e32 v88, v55, v26
	v_mul_f16_e32 v85, v56, v7
	;; [unrolled: 1-line block ×3, first 2 shown]
	v_lshrrev_b32_e32 v82, 16, v4
	v_lshrrev_b32_e32 v83, 16, v5
	v_fmac_f16_e32 v88, v19, v28
	v_fma_f16 v28, v19, v26, -v89
	v_mul_f16_e32 v26, v56, v31
	v_fmac_f16_e32 v85, v18, v30
	v_mul_f16_e32 v30, v56, v84
	v_fma_f16 v87, v18, v7, -v87
	v_mul_f16_e32 v89, v55, v86
	v_mul_f16_e32 v7, v56, v81
	v_fma_f16 v84, v18, v84, -v26
	v_mul_f16_e32 v26, v56, v27
	v_fmac_f16_e32 v30, v18, v31
	v_mul_f16_e32 v31, v55, v29
	v_fmac_f16_e32 v89, v19, v29
	v_fmac_f16_e32 v7, v18, v27
	v_add_f16_e32 v29, v85, v88
	v_fma_f16 v27, v18, v81, -v26
	v_mul_f16_e32 v18, v55, v79
	v_fma_f16 v56, v19, v86, -v31
	v_mul_f16_e32 v26, v55, v80
	v_add_f16_e32 v31, v4, v85
	v_fma_f16 v81, -0.5, v29, v4
	v_sub_f16_e32 v29, v87, v28
	v_fma_f16 v4, v19, v80, -v18
	v_add_f16_e32 v18, v87, v28
	v_fmac_f16_e32 v26, v19, v79
	v_add_f16_e32 v19, v30, v89
	v_fmamk_f16 v80, v29, 0xbaee, v81
	v_fmac_f16_e32 v81, 0x3aee, v29
	v_add_f16_e32 v29, v82, v87
	v_fmac_f16_e32 v82, -0.5, v18
	v_sub_f16_e32 v18, v85, v88
	v_add_f16_e32 v79, v31, v88
	v_add_f16_e32 v31, v5, v30
	v_fmac_f16_e32 v5, -0.5, v19
	v_sub_f16_e32 v19, v84, v56
	v_fmamk_f16 v86, v18, 0x3aee, v82
	v_fmac_f16_e32 v82, 0xbaee, v18
	v_add_f16_e32 v18, v84, v56
	v_add_f16_e32 v85, v29, v28
	;; [unrolled: 1-line block ×5, first 2 shown]
	v_lshrrev_b32_e32 v31, 16, v6
	v_fmamk_f16 v88, v19, 0xbaee, v5
	v_fmac_f16_e32 v5, 0x3aee, v19
	v_add_f16_e32 v19, v83, v84
	v_fmac_f16_e32 v83, -0.5, v18
	v_sub_f16_e32 v18, v30, v89
	v_fma_f16 v28, -0.5, v28, v6
	v_sub_f16_e32 v30, v27, v4
	v_fma_f16 v29, -0.5, v29, v31
	v_sub_f16_e32 v55, v7, v26
	v_add_f16_e32 v56, v19, v56
	v_fmamk_f16 v84, v18, 0x3aee, v83
	v_fmac_f16_e32 v83, 0xbaee, v18
	v_fmamk_f16 v18, v30, 0x3aee, v28
	v_fmamk_f16 v19, v55, 0xbaee, v29
	v_pack_b32_f16 v79, v79, v85
	v_pack_b32_f16 v80, v80, v86
	v_pack_b32_f16 v81, v81, v82
	v_pack_b32_f16 v56, v87, v56
	v_pack_b32_f16 v82, v88, v84
	v_pack_b32_f16 v5, v5, v83
	global_wb scope:SCOPE_SE
	s_barrier_signal -1
	s_barrier_wait -1
	global_inv scope:SCOPE_SE
	ds_store_2addr_b32 v53, v79, v80 offset1:4
	ds_store_b32 v53, v81 offset:32
	ds_store_2addr_b32 v52, v56, v82 offset1:4
	ds_store_b32 v52, v5 offset:32
	s_and_saveexec_b32 s0, vcc_lo
	s_cbranch_execz .LBB0_13
; %bb.12:
	v_mul_f16_e32 v5, 0x3aee, v55
	v_add_f16_e32 v27, v27, v31
	v_mul_u32_u24_e32 v31, 12, v51
	v_add_f16_e32 v6, v6, v7
	v_mul_f16_e32 v7, 0x3aee, v30
	v_add_f16_e32 v5, v5, v29
	v_add_f16_e32 v4, v4, v27
	v_or_b32_e32 v27, v31, v50
	v_add_f16_e32 v6, v26, v6
	v_sub_f16_e32 v7, v28, v7
	s_delay_alu instid0(VALU_DEP_3) | instskip(NEXT) | instid1(VALU_DEP_3)
	v_lshlrev_b32_e32 v26, 2, v27
	v_pack_b32_f16 v4, v6, v4
	s_delay_alu instid0(VALU_DEP_3)
	v_pack_b32_f16 v5, v7, v5
	v_perm_b32 v6, v19, v18, 0x5040100
	ds_store_2addr_b32 v26, v4, v5 offset1:4
	ds_store_b32 v26, v6 offset:32
.LBB0_13:
	s_wait_alu 0xfffe
	s_or_b32 exec_lo, exec_lo, s0
	global_wb scope:SCOPE_SE
	s_wait_dscnt 0x0
	s_barrier_signal -1
	s_barrier_wait -1
	global_inv scope:SCOPE_SE
	ds_load_2addr_b32 v[4:5], v48 offset1:144
	v_add_nc_u32_e32 v6, 0x400, v48
	v_add_nc_u32_e32 v26, 0x800, v48
	;; [unrolled: 1-line block ×3, first 2 shown]
	ds_load_2addr_b32 v[6:7], v6 offset0:32 offset1:176
	ds_load_2addr_b32 v[26:27], v26 offset0:64 offset1:208
	;; [unrolled: 1-line block ×3, first 2 shown]
	global_wb scope:SCOPE_SE
	s_wait_dscnt 0x0
	s_barrier_signal -1
	s_barrier_wait -1
	global_inv scope:SCOPE_SE
	v_lshrrev_b32_e32 v50, 16, v5
	v_mul_f16_e32 v51, v64, v5
	v_lshrrev_b32_e32 v31, 16, v4
	v_lshrrev_b32_e32 v52, 16, v6
	;; [unrolled: 1-line block ×3, first 2 shown]
	v_mul_f16_e32 v64, v64, v50
	v_fma_f16 v50, v0, v50, -v51
	v_mul_f16_e32 v51, v63, v6
	v_lshrrev_b32_e32 v55, 16, v26
	v_lshrrev_b32_e32 v56, 16, v27
	;; [unrolled: 1-line block ×3, first 2 shown]
	v_mul_f16_e32 v81, v61, v7
	v_fmac_f16_e32 v64, v0, v5
	v_fma_f16 v5, v1, v52, -v51
	v_mul_f16_e32 v51, v61, v53
	v_lshrrev_b32_e32 v80, 16, v29
	v_mul_f16_e32 v82, v62, v26
	v_mul_f16_e32 v83, v60, v27
	v_mul_f16_e32 v0, v63, v52
	v_mul_f16_e32 v52, v62, v55
	v_fma_f16 v53, v2, v53, -v81
	v_mul_f16_e32 v60, v60, v56
	v_fmac_f16_e32 v51, v2, v7
	v_mul_f16_e32 v2, v58, v79
	v_fmac_f16_e32 v0, v1, v6
	v_fmac_f16_e32 v52, v3, v26
	v_fma_f16 v1, v3, v55, -v82
	v_fmac_f16_e32 v60, v8, v27
	v_fma_f16 v3, v8, v56, -v83
	v_mul_f16_e32 v6, v58, v28
	v_mul_f16_e32 v7, v57, v80
	;; [unrolled: 1-line block ×3, first 2 shown]
	v_fmac_f16_e32 v2, v9, v28
	v_sub_f16_e32 v26, v4, v52
	v_fma_f16 v6, v9, v79, -v6
	v_fmac_f16_e32 v7, v10, v29
	v_fma_f16 v8, v10, v80, -v8
	v_sub_f16_e32 v2, v0, v2
	v_sub_f16_e32 v1, v31, v1
	v_fma_f16 v4, v4, 2.0, -v26
	v_sub_f16_e32 v6, v5, v6
	v_sub_f16_e32 v9, v64, v60
	;; [unrolled: 1-line block ×3, first 2 shown]
	v_fma_f16 v0, v0, 2.0, -v2
	v_sub_f16_e32 v7, v51, v7
	v_sub_f16_e32 v8, v53, v8
	v_fma_f16 v10, v31, 2.0, -v1
	v_fma_f16 v5, v5, 2.0, -v6
	;; [unrolled: 1-line block ×4, first 2 shown]
	v_sub_f16_e32 v29, v4, v0
	v_fma_f16 v0, v51, 2.0, -v7
	v_fma_f16 v31, v53, 2.0, -v8
	v_add_f16_e32 v6, v26, v6
	v_sub_f16_e32 v2, v1, v2
	v_add_f16_e32 v51, v9, v8
	v_sub_f16_e32 v7, v3, v7
	v_sub_f16_e32 v5, v10, v5
	;; [unrolled: 1-line block ×4, first 2 shown]
	v_fma_f16 v26, v26, 2.0, -v6
	v_fma_f16 v31, v1, 2.0, -v2
	;; [unrolled: 1-line block ×8, first 2 shown]
	v_fmamk_f16 v28, v8, 0xb9a8, v26
	v_fmamk_f16 v53, v3, 0xb9a8, v31
	v_add_f16_e32 v0, v29, v0
	v_sub_f16_e32 v27, v4, v1
	v_sub_f16_e32 v52, v10, v9
	v_fmamk_f16 v1, v51, 0x39a8, v6
	v_fmamk_f16 v9, v7, 0x39a8, v2
	v_fmac_f16_e32 v28, 0x39a8, v3
	v_fmac_f16_e32 v53, 0xb9a8, v8
	v_sub_f16_e32 v8, v5, v50
	v_fmac_f16_e32 v1, 0x39a8, v7
	v_fmac_f16_e32 v9, 0xb9a8, v51
	v_fma_f16 v4, v4, 2.0, -v27
	v_fma_f16 v3, v10, 2.0, -v52
	;; [unrolled: 1-line block ×8, first 2 shown]
	v_pack_b32_f16 v3, v4, v3
	v_pack_b32_f16 v4, v10, v7
	v_pack_b32_f16 v5, v26, v5
	v_pack_b32_f16 v7, v28, v53
	v_pack_b32_f16 v2, v6, v2
	v_pack_b32_f16 v6, v27, v52
	v_pack_b32_f16 v10, v0, v8
	v_pack_b32_f16 v26, v1, v9
	ds_store_2addr_b32 v54, v3, v4 offset1:12
	ds_store_2addr_b32 v54, v5, v2 offset0:24 offset1:36
	ds_store_2addr_b32 v54, v6, v7 offset0:48 offset1:60
	;; [unrolled: 1-line block ×3, first 2 shown]
	v_add_nc_u32_e32 v4, 0x600, v48
	global_wb scope:SCOPE_SE
	s_wait_dscnt 0x0
	s_barrier_signal -1
	s_barrier_wait -1
	global_inv scope:SCOPE_SE
	ds_load_2addr_b32 v[2:3], v48 offset1:144
	ds_load_2addr_b32 v[6:7], v4 offset1:144
	;; [unrolled: 1-line block ×3, first 2 shown]
	s_and_saveexec_b32 s0, vcc_lo
	s_cbranch_execz .LBB0_15
; %bb.14:
	v_add_nc_u32_e32 v0, 0x80, v48
	ds_load_2addr_stride64_b32 v[0:1], v0 offset0:4 offset1:10
	ds_load_b32 v18, v48 offset:4224
	s_wait_dscnt 0x1
	v_lshrrev_b32_e32 v8, 16, v0
	v_lshrrev_b32_e32 v9, 16, v1
	s_wait_dscnt 0x0
	v_lshrrev_b32_e32 v19, 16, v18
.LBB0_15:
	s_wait_alu 0xfffe
	s_or_b32 exec_lo, exec_lo, s0
	s_wait_dscnt 0x1
	v_lshrrev_b32_e32 v10, 16, v6
	s_wait_dscnt 0x0
	v_lshrrev_b32_e32 v27, 16, v4
	v_lshrrev_b32_e32 v29, 16, v7
	v_mul_f16_e32 v31, v75, v6
	v_lshrrev_b32_e32 v50, 16, v5
	v_mul_f16_e32 v30, v75, v10
	v_mul_f16_e32 v51, v76, v27
	;; [unrolled: 1-line block ×3, first 2 shown]
	v_lshrrev_b32_e32 v26, 16, v2
	v_lshrrev_b32_e32 v28, 16, v3
	v_fmac_f16_e32 v30, v24, v6
	v_fma_f16 v6, v24, v10, -v31
	v_mul_f16_e32 v10, v78, v29
	v_fmac_f16_e32 v51, v25, v4
	v_mul_f16_e32 v4, v78, v7
	v_fma_f16 v24, v25, v27, -v52
	v_mul_f16_e32 v25, v77, v50
	v_fmac_f16_e32 v10, v22, v7
	v_mul_f16_e32 v7, v77, v5
	v_fma_f16 v4, v22, v29, -v4
	v_add_f16_e32 v22, v30, v51
	v_fmac_f16_e32 v25, v23, v5
	v_add_f16_e32 v5, v2, v30
	v_fma_f16 v7, v23, v50, -v7
	v_add_f16_e32 v23, v6, v24
	v_fma_f16 v2, -0.5, v22, v2
	v_sub_f16_e32 v22, v6, v24
	v_add_f16_e32 v6, v26, v6
	v_add_f16_e32 v29, v3, v10
	v_fmac_f16_e32 v26, -0.5, v23
	v_sub_f16_e32 v23, v30, v51
	v_fmamk_f16 v27, v22, 0xbaee, v2
	v_fmac_f16_e32 v2, 0x3aee, v22
	v_add_f16_e32 v6, v6, v24
	v_add_f16_e32 v22, v10, v25
	v_fmamk_f16 v24, v23, 0x3aee, v26
	v_fmac_f16_e32 v26, 0xbaee, v23
	v_add_f16_e32 v23, v4, v7
	v_sub_f16_e32 v10, v10, v25
	v_fmac_f16_e32 v3, -0.5, v22
	v_sub_f16_e32 v22, v4, v7
	v_add_f16_e32 v4, v28, v4
	v_fmac_f16_e32 v28, -0.5, v23
	v_add_f16_e32 v5, v5, v51
	v_add_f16_e32 v23, v29, v25
	v_fmamk_f16 v25, v22, 0xbaee, v3
	v_add_f16_e32 v4, v4, v7
	v_fmamk_f16 v7, v10, 0x3aee, v28
	v_fmac_f16_e32 v3, 0x3aee, v22
	v_fmac_f16_e32 v28, 0xbaee, v10
	v_pack_b32_f16 v5, v5, v6
	v_pack_b32_f16 v6, v27, v24
	;; [unrolled: 1-line block ×6, first 2 shown]
	global_wb scope:SCOPE_SE
	s_barrier_signal -1
	s_barrier_wait -1
	global_inv scope:SCOPE_SE
	ds_store_2addr_b32 v65, v5, v6 offset1:96
	ds_store_b32 v65, v2 offset:768
	ds_store_2addr_b32 v66, v4, v7 offset1:96
	ds_store_b32 v66, v3 offset:768
	s_and_saveexec_b32 s0, vcc_lo
	s_cbranch_execz .LBB0_17
; %bb.16:
	v_mul_f16_e32 v2, v68, v9
	v_mul_f16_e32 v3, v67, v19
	;; [unrolled: 1-line block ×4, first 2 shown]
	s_delay_alu instid0(VALU_DEP_4) | instskip(NEXT) | instid1(VALU_DEP_4)
	v_fmac_f16_e32 v2, v20, v1
	v_fmac_f16_e32 v3, v21, v18
	s_delay_alu instid0(VALU_DEP_4) | instskip(NEXT) | instid1(VALU_DEP_4)
	v_fma_f16 v1, v20, v9, -v4
	v_fma_f16 v4, v21, v19, -v5
	s_delay_alu instid0(VALU_DEP_3) | instskip(SKIP_1) | instid1(VALU_DEP_3)
	v_add_f16_e32 v7, v3, v2
	v_sub_f16_e32 v5, v2, v3
	v_add_f16_e32 v6, v4, v1
	v_sub_f16_e32 v9, v1, v4
	v_add_f16_e32 v1, v1, v8
	v_add_f16_e32 v2, v0, v2
	v_fma_f16 v0, -0.5, v7, v0
	v_fma_f16 v6, -0.5, v6, v8
	v_lshlrev_b32_e32 v7, 2, v59
	v_add_f16_e32 v1, v4, v1
	v_add_f16_e32 v2, v3, v2
	v_fmamk_f16 v4, v9, 0xbaee, v0
	v_fmamk_f16 v3, v5, 0x3aee, v6
	v_fmac_f16_e32 v6, 0xbaee, v5
	v_fmac_f16_e32 v0, 0x3aee, v9
	v_add_nc_u32_e32 v5, 0xc00, v7
	v_pack_b32_f16 v1, v2, v1
	v_pack_b32_f16 v2, v4, v3
	s_delay_alu instid0(VALU_DEP_4)
	v_pack_b32_f16 v0, v0, v6
	ds_store_2addr_b32 v5, v1, v2 offset0:96 offset1:192
	ds_store_b32 v7, v0 offset:4224
.LBB0_17:
	s_wait_alu 0xfffe
	s_or_b32 exec_lo, exec_lo, s0
	v_add_nc_u32_e32 v8, 0x400, v48
	v_add_nc_u32_e32 v9, 0x800, v48
	;; [unrolled: 1-line block ×3, first 2 shown]
	global_wb scope:SCOPE_SE
	s_wait_dscnt 0x0
	s_barrier_signal -1
	s_barrier_wait -1
	global_inv scope:SCOPE_SE
	ds_load_2addr_b32 v[0:1], v48 offset1:144
	ds_load_2addr_b32 v[2:3], v8 offset0:32 offset1:176
	ds_load_2addr_b32 v[4:5], v9 offset0:64 offset1:208
	;; [unrolled: 1-line block ×3, first 2 shown]
	s_mov_b32 s8, 0x1c71c71c
	s_mov_b32 s9, 0x3f4c71c7
	s_wait_dscnt 0x3
	v_lshrrev_b32_e32 v10, 16, v0
	s_wait_dscnt 0x2
	v_lshrrev_b32_e32 v19, 16, v2
	;; [unrolled: 2-line block ×4, first 2 shown]
	v_mul_f16_e32 v26, v74, v2
	v_mul_f16_e32 v27, v73, v4
	v_lshrrev_b32_e32 v22, 16, v3
	v_lshrrev_b32_e32 v23, 16, v5
	;; [unrolled: 1-line block ×3, first 2 shown]
	v_mul_f16_e32 v28, v72, v6
	v_mul_f16_e32 v50, v74, v19
	v_fma_f16 v19, v14, v19, -v26
	v_mul_f16_e32 v26, v73, v20
	v_fma_f16 v20, v15, v20, -v27
	v_mul_f16_e32 v27, v72, v21
	v_mul_f16_e32 v29, v71, v3
	;; [unrolled: 1-line block ×4, first 2 shown]
	v_fma_f16 v21, v16, v21, -v28
	v_mul_f16_e32 v28, v71, v22
	v_fmac_f16_e32 v50, v14, v2
	v_fmac_f16_e32 v27, v16, v6
	v_mul_f16_e32 v2, v70, v23
	v_mul_f16_e32 v6, v69, v25
	v_fmac_f16_e32 v26, v15, v4
	v_lshrrev_b32_e32 v18, 16, v1
	v_fma_f16 v22, v11, v22, -v29
	v_fma_f16 v4, v12, v23, -v30
	;; [unrolled: 1-line block ×3, first 2 shown]
	v_fmac_f16_e32 v28, v11, v3
	v_fmac_f16_e32 v2, v12, v5
	v_fmac_f16_e32 v6, v13, v7
	v_sub_f16_e32 v14, v0, v26
	v_sub_f16_e32 v15, v50, v27
	;; [unrolled: 1-line block ×8, first 2 shown]
	v_fma_f16 v0, v0, 2.0, -v14
	v_fma_f16 v23, v50, 2.0, -v15
	v_fma_f16 v3, v10, 2.0, -v20
	v_fma_f16 v5, v19, 2.0, -v21
	v_fma_f16 v1, v1, 2.0, -v2
	v_fma_f16 v12, v18, 2.0, -v4
	v_fma_f16 v13, v28, 2.0, -v6
	v_fma_f16 v16, v22, 2.0, -v7
	v_sub_f16_e32 v10, v0, v23
	v_sub_f16_e32 v5, v3, v5
	v_add_f16_e32 v11, v14, v21
	v_sub_f16_e32 v15, v20, v15
	v_sub_f16_e32 v13, v1, v13
	;; [unrolled: 1-line block ×3, first 2 shown]
	v_add_f16_e32 v7, v2, v7
	v_sub_f16_e32 v6, v4, v6
	v_fma_f16 v0, v0, 2.0, -v10
	v_fma_f16 v3, v3, 2.0, -v5
	;; [unrolled: 1-line block ×8, first 2 shown]
	v_pack_b32_f16 v0, v0, v3
	v_pack_b32_f16 v3, v14, v18
	;; [unrolled: 1-line block ×8, first 2 shown]
	ds_store_b32 v48, v3 offset:1152
	ds_store_b32 v48, v5 offset:2304
	;; [unrolled: 1-line block ×3, first 2 shown]
	ds_store_2addr_b32 v48, v0, v1 offset1:144
	ds_store_b32 v48, v2 offset:1728
	ds_store_b32 v48, v4 offset:2880
	;; [unrolled: 1-line block ×3, first 2 shown]
	global_wb scope:SCOPE_SE
	s_wait_dscnt 0x0
	s_barrier_signal -1
	s_barrier_wait -1
	global_inv scope:SCOPE_SE
	ds_load_2addr_b32 v[6:7], v48 offset1:144
	ds_load_2addr_b32 v[4:5], v8 offset0:32 offset1:176
	v_mad_co_u64_u32 v[14:15], null, s6, v17, 0
	v_mad_co_u64_u32 v[22:23], null, s4, v41, 0
	s_wait_dscnt 0x1
	v_lshrrev_b32_e32 v0, 16, v6
	v_mul_f16_e32 v1, v49, v6
	s_wait_dscnt 0x0
	v_lshrrev_b32_e32 v8, 16, v4
	v_mul_f16_e32 v2, v47, v4
	v_mul_f16_e32 v10, v49, v0
	v_fma_f16 v1, v44, v0, -v1
	s_delay_alu instid0(VALU_DEP_3) | instskip(NEXT) | instid1(VALU_DEP_3)
	v_fma_f16 v0, v46, v8, -v2
	v_fmac_f16_e32 v10, v44, v6
	s_delay_alu instid0(VALU_DEP_3) | instskip(SKIP_1) | instid1(VALU_DEP_4)
	v_cvt_f32_f16_e32 v1, v1
	v_mul_f16_e32 v6, v47, v8
	v_cvt_f32_f16_e32 v8, v0
	s_delay_alu instid0(VALU_DEP_4) | instskip(NEXT) | instid1(VALU_DEP_4)
	v_cvt_f32_f16_e32 v10, v10
	v_cvt_f64_f32_e32 v[0:1], v1
	s_delay_alu instid0(VALU_DEP_4) | instskip(NEXT) | instid1(VALU_DEP_3)
	v_fmac_f16_e32 v6, v46, v4
	v_cvt_f64_f32_e32 v[10:11], v10
	s_delay_alu instid0(VALU_DEP_2) | instskip(NEXT) | instid1(VALU_DEP_1)
	v_cvt_f32_f16_e32 v4, v6
	v_cvt_f64_f32_e32 v[12:13], v4
	s_wait_alu 0xfffe
	v_mul_f64_e32 v[20:21], s[8:9], v[0:1]
	v_mov_b32_e32 v0, v15
	ds_load_2addr_b32 v[2:3], v9 offset0:64 offset1:208
	v_cvt_f64_f32_e32 v[8:9], v8
	v_mul_f64_e32 v[10:11], s[8:9], v[10:11]
	v_mad_co_u64_u32 v[15:16], null, s7, v17, v[0:1]
	ds_load_2addr_b32 v[0:1], v24 offset0:96 offset1:240
	v_mul_f64_e32 v[12:13], s[8:9], v[12:13]
	v_lshlrev_b64_e32 v[14:15], 2, v[14:15]
	s_wait_dscnt 0x1
	v_lshrrev_b32_e32 v6, 16, v2
	s_delay_alu instid0(VALU_DEP_1) | instskip(NEXT) | instid1(VALU_DEP_1)
	v_mul_f16_e32 v4, v45, v6
	v_fmac_f16_e32 v4, v43, v2
	v_mul_f16_e32 v2, v45, v2
	s_delay_alu instid0(VALU_DEP_2) | instskip(NEXT) | instid1(VALU_DEP_2)
	v_cvt_f32_f16_e32 v4, v4
	v_fma_f16 v2, v43, v6, -v2
	v_mul_f64_e32 v[8:9], s[8:9], v[8:9]
	s_delay_alu instid0(VALU_DEP_3) | instskip(SKIP_1) | instid1(VALU_DEP_4)
	v_cvt_f64_f32_e32 v[18:19], v4
	v_mov_b32_e32 v4, v23
	v_cvt_f32_f16_e32 v2, v2
	v_and_or_b32 v10, 0x1ff, v11, v10
	v_lshrrev_b32_e32 v26, 8, v11
	v_bfe_u32 v27, v11, 20, 11
	v_mad_co_u64_u32 v[16:17], null, s5, v41, v[4:5]
	v_add_co_u32 v4, vcc_lo, s2, v14
	s_wait_alu 0xfffd
	v_add_co_ci_u32_e32 v6, vcc_lo, s3, v15, vcc_lo
	v_cvt_f64_f32_e32 v[14:15], v2
	v_and_or_b32 v2, 0x1ff, v21, v20
	v_mov_b32_e32 v23, v16
	v_and_or_b32 v12, 0x1ff, v13, v12
	v_lshrrev_b32_e32 v20, 8, v21
	v_sub_nc_u32_e32 v41, 0x3f1, v27
	v_cmp_ne_u32_e32 vcc_lo, 0, v2
	v_lshlrev_b64_e32 v[16:17], 2, v[22:23]
	v_bfe_u32 v23, v21, 20, 11
	v_lshrrev_b32_e32 v29, 8, v13
	v_bfe_u32 v30, v13, 20, 11
	s_wait_alu 0xfffd
	v_cndmask_b32_e64 v2, 0, 1, vcc_lo
	v_lshrrev_b32_e32 v11, 16, v11
	v_sub_nc_u32_e32 v28, 0x3f1, v23
	v_add_nc_u32_e32 v23, 0xfffffc10, v23
	v_lshrrev_b32_e32 v21, 16, v21
	v_and_or_b32 v2, 0xffe, v20, v2
	s_wait_dscnt 0x0
	v_lshrrev_b32_e32 v22, 16, v0
	v_med3_i32 v20, v28, 0, 13
	v_sub_nc_u32_e32 v28, 0x3f1, v30
	v_add_nc_u32_e32 v30, 0xfffffc10, v30
	v_lshl_or_b32 v43, v23, 12, v2
	v_add_nc_u32_e32 v27, 0xfffffc10, v27
	v_lshrrev_b32_e32 v13, 16, v13
	v_med3_i32 v28, v28, 0, 13
	v_and_or_b32 v8, 0x1ff, v9, v8
	v_bfe_u32 v25, v9, 20, 11
	v_lshrrev_b32_e32 v24, 8, v9
	v_mul_f64_e32 v[18:19], s[8:9], v[18:19]
	s_delay_alu instid0(VALU_DEP_4) | instskip(NEXT) | instid1(VALU_DEP_4)
	v_cmp_ne_u32_e32 vcc_lo, 0, v8
	v_sub_nc_u32_e32 v31, 0x3f1, v25
	s_wait_alu 0xfffd
	v_cndmask_b32_e64 v8, 0, 1, vcc_lo
	v_cmp_ne_u32_e32 vcc_lo, 0, v10
	s_delay_alu instid0(VALU_DEP_2)
	v_and_or_b32 v8, 0xffe, v24, v8
	s_wait_alu 0xfffd
	v_cndmask_b32_e64 v10, 0, 1, vcc_lo
	v_cmp_ne_u32_e32 vcc_lo, 0, v12
	v_med3_i32 v24, v31, 0, 13
	v_or_b32_e32 v31, 0x1000, v2
	v_or_b32_e32 v45, 0x1000, v8
	v_and_or_b32 v10, 0xffe, v26, v10
	s_wait_alu 0xfffd
	v_cndmask_b32_e64 v12, 0, 1, vcc_lo
	v_med3_i32 v26, v41, 0, 13
	v_cmp_ne_u32_e32 vcc_lo, 0, v2
	v_lshrrev_b32_e32 v44, v20, v31
	v_or_b32_e32 v41, 0x1000, v10
	v_and_or_b32 v12, 0xffe, v29, v12
	v_lshl_or_b32 v46, v27, 12, v10
	s_wait_alu 0xfffd
	v_cndmask_b32_e64 v2, 0, 1, vcc_lo
	v_cmp_ne_u32_e32 vcc_lo, 0, v10
	v_lshrrev_b32_e32 v29, v26, v41
	v_lshlrev_b32_e32 v20, v20, v44
	v_or_b32_e32 v47, 0x1000, v12
	v_lshl_or_b32 v2, v2, 9, 0x7c00
	s_wait_alu 0xfffd
	v_cndmask_b32_e64 v10, 0, 1, vcc_lo
	v_lshlrev_b32_e32 v26, v26, v29
	s_delay_alu instid0(VALU_DEP_2) | instskip(NEXT) | instid1(VALU_DEP_2)
	v_lshl_or_b32 v10, v10, 9, 0x7c00
	v_cmp_ne_u32_e32 vcc_lo, v26, v41
	v_and_or_b32 v18, 0x1ff, v19, v18
	s_wait_alu 0xfffd
	v_cndmask_b32_e64 v26, 0, 1, vcc_lo
	v_cmp_ne_u32_e32 vcc_lo, v20, v31
	v_lshrrev_b32_e32 v31, v28, v47
	s_delay_alu instid0(VALU_DEP_3)
	v_or_b32_e32 v26, v29, v26
	s_wait_alu 0xfffd
	v_cndmask_b32_e64 v20, 0, 1, vcc_lo
	v_cmp_gt_i32_e32 vcc_lo, 1, v27
	v_add_nc_u32_e32 v25, 0xfffffc10, v25
	v_lshlrev_b32_e32 v28, v28, v31
	v_lshl_or_b32 v29, v30, 12, v12
	v_or_b32_e32 v20, v44, v20
	s_wait_alu 0xfffd
	v_cndmask_b32_e32 v26, v46, v26, vcc_lo
	v_cmp_gt_i32_e32 vcc_lo, 1, v23
	s_wait_alu 0xfffd
	v_cndmask_b32_e32 v20, v43, v20, vcc_lo
	v_cmp_ne_u32_e32 vcc_lo, v28, v47
	v_lshrrev_b32_e32 v43, v24, v45
	s_delay_alu instid0(VALU_DEP_3)
	v_and_b32_e32 v44, 7, v20
	s_wait_alu 0xfffd
	v_cndmask_b32_e64 v28, 0, 1, vcc_lo
	v_lshrrev_b32_e32 v20, 2, v20
	v_lshlrev_b32_e32 v24, v24, v43
	v_cmp_lt_i32_e64 s1, 5, v44
	s_delay_alu instid0(VALU_DEP_4) | instskip(SKIP_3) | instid1(VALU_DEP_3)
	v_or_b32_e32 v28, v31, v28
	v_and_b32_e32 v41, 7, v26
	v_lshrrev_b32_e32 v26, 2, v26
	v_cmp_eq_u32_e64 s2, 3, v44
	v_cmp_lt_i32_e32 vcc_lo, 5, v41
	v_cmp_eq_u32_e64 s0, 3, v41
	s_delay_alu instid0(VALU_DEP_1)
	s_or_b32 vcc_lo, s0, vcc_lo
	s_wait_alu 0xfffe
	v_add_co_ci_u32_e32 v26, vcc_lo, 0, v26, vcc_lo
	s_or_b32 vcc_lo, s2, s1
	v_cmp_ne_u32_e64 s1, v24, v45
	s_wait_alu 0xfffe
	v_add_co_ci_u32_e32 v20, vcc_lo, 0, v20, vcc_lo
	v_cmp_gt_i32_e32 vcc_lo, 31, v27
	v_lshl_or_b32 v24, v25, 12, v8
	s_mul_u64 s[2:3], s[4:5], 0x480
	s_wait_alu 0xfffd
	v_cndmask_b32_e32 v26, 0x7c00, v26, vcc_lo
	v_cmp_gt_i32_e32 vcc_lo, 1, v30
	s_wait_alu 0xfffd
	v_cndmask_b32_e32 v28, v29, v28, vcc_lo
	v_cmp_gt_i32_e32 vcc_lo, 31, v23
	s_wait_alu 0xfffd
	v_cndmask_b32_e32 v20, 0x7c00, v20, vcc_lo
	v_cmp_eq_u32_e32 vcc_lo, 0x40f, v27
	s_wait_alu 0xfffd
	v_cndmask_b32_e32 v10, v26, v10, vcc_lo
	v_and_b32_e32 v26, 7, v28
	v_cmp_eq_u32_e32 vcc_lo, 0x40f, v23
	v_mul_f16_e32 v23, v42, v22
	s_delay_alu instid0(VALU_DEP_4) | instskip(NEXT) | instid1(VALU_DEP_4)
	v_and_or_b32 v10, 0x8000, v11, v10
	v_cmp_eq_u32_e64 s0, 3, v26
	s_wait_alu 0xfffd
	v_cndmask_b32_e32 v2, v20, v2, vcc_lo
	v_cmp_lt_i32_e32 vcc_lo, 5, v26
	v_lshrrev_b32_e32 v11, 2, v28
	v_cndmask_b32_e64 v20, 0, 1, s1
	v_and_b32_e32 v10, 0xffff, v10
	v_and_or_b32 v2, 0x8000, v21, v2
	s_or_b32 vcc_lo, s0, vcc_lo
	v_fmac_f16_e32 v23, v40, v0
	s_wait_alu 0xfffe
	v_add_co_ci_u32_e32 v21, vcc_lo, 0, v11, vcc_lo
	v_or_b32_e32 v20, v43, v20
	v_cmp_gt_i32_e32 vcc_lo, 1, v25
	v_lshl_or_b32 v2, v2, 16, v10
	v_mul_f64_e32 v[10:11], s[8:9], v[14:15]
	v_cvt_f32_f16_e32 v14, v23
	v_bfe_u32 v23, v19, 20, 11
	s_wait_alu 0xfffd
	v_cndmask_b32_e32 v20, v24, v20, vcc_lo
	v_cmp_ne_u32_e32 vcc_lo, 0, v18
	v_lshrrev_b32_e32 v24, 8, v19
	v_cvt_f64_f32_e32 v[14:15], v14
	v_cmp_eq_u32_e64 s1, 0x40f, v30
	v_and_b32_e32 v26, 7, v20
	s_wait_alu 0xfffd
	v_cndmask_b32_e64 v18, 0, 1, vcc_lo
	v_cmp_ne_u32_e32 vcc_lo, 0, v12
	v_lshrrev_b32_e32 v20, 2, v20
	v_mul_f16_e32 v0, v42, v0
	v_cmp_eq_u32_e64 s0, 3, v26
	v_and_or_b32 v18, 0xffe, v24, v18
	s_wait_alu 0xfffd
	v_cndmask_b32_e64 v12, 0, 1, vcc_lo
	v_sub_nc_u32_e32 v24, 0x3f1, v23
	v_cmp_gt_i32_e32 vcc_lo, 31, v30
	v_fma_f16 v0, v40, v22, -v0
	v_or_b32_e32 v27, 0x1000, v18
	v_lshl_or_b32 v12, v12, 9, 0x7c00
	v_med3_i32 v24, v24, 0, 13
	s_wait_alu 0xfffd
	v_cndmask_b32_e32 v21, 0x7c00, v21, vcc_lo
	v_cmp_lt_i32_e32 vcc_lo, 5, v26
	v_cvt_f32_f16_e32 v0, v0
	v_add_nc_u32_e32 v22, 0xfffffc10, v23
	v_lshrrev_b32_e32 v19, 16, v19
	s_wait_alu 0xf1ff
	v_cndmask_b32_e64 v12, v21, v12, s1
	v_lshrrev_b32_e32 v21, v24, v27
	s_or_b32 vcc_lo, s0, vcc_lo
	v_lshl_or_b32 v23, v22, 12, v18
	s_wait_alu 0xfffe
	v_add_co_ci_u32_e32 v20, vcc_lo, 0, v20, vcc_lo
	v_lshlrev_b32_e32 v24, v24, v21
	v_cmp_gt_i32_e32 vcc_lo, 31, v25
	v_and_or_b32 v26, 0x8000, v13, v12
	v_cmp_eq_u32_e64 s1, 0x40f, v22
	v_and_or_b32 v10, 0x1ff, v11, v10
	s_wait_alu 0xfffd
	v_cndmask_b32_e32 v20, 0x7c00, v20, vcc_lo
	v_cmp_ne_u32_e32 vcc_lo, v24, v27
	v_bfe_u32 v24, v11, 20, 11
	v_mul_f64_e32 v[14:15], s[8:9], v[14:15]
	s_wait_alu 0xfffd
	v_cndmask_b32_e64 v12, 0, 1, vcc_lo
	v_cmp_ne_u32_e32 vcc_lo, 0, v8
	s_delay_alu instid0(VALU_DEP_2)
	v_or_b32_e32 v21, v21, v12
	s_wait_alu 0xfffd
	v_cndmask_b32_e64 v8, 0, 1, vcc_lo
	v_cmp_ne_u32_e32 vcc_lo, 0, v10
	v_cvt_f64_f32_e32 v[12:13], v0
	v_lshrrev_b32_e32 v0, 8, v11
	s_delay_alu instid0(VALU_DEP_4) | instskip(SKIP_3) | instid1(VALU_DEP_2)
	v_lshl_or_b32 v8, v8, 9, 0x7c00
	s_wait_alu 0xfffd
	v_cndmask_b32_e64 v10, 0, 1, vcc_lo
	v_cmp_gt_i32_e32 vcc_lo, 1, v22
	v_and_or_b32 v0, 0xffe, v0, v10
	v_sub_nc_u32_e32 v10, 0x3f1, v24
	s_wait_alu 0xfffd
	v_cndmask_b32_e32 v21, v23, v21, vcc_lo
	v_cmp_eq_u32_e32 vcc_lo, 0x40f, v25
	v_lshrrev_b32_e32 v23, 16, v9
	v_or_b32_e32 v27, 0x1000, v0
	v_med3_i32 v10, v10, 0, 13
	s_wait_alu 0xfffd
	v_dual_cndmask_b32 v20, v20, v8 :: v_dual_and_b32 v25, 7, v21
	v_add_co_u32 v8, vcc_lo, v4, v16
	s_wait_alu 0xfffd
	v_add_co_ci_u32_e32 v9, vcc_lo, v6, v17, vcc_lo
	v_lshrrev_b32_e32 v16, v10, v27
	v_cmp_lt_i32_e32 vcc_lo, 5, v25
	v_cmp_eq_u32_e64 s0, 3, v25
	global_store_b32 v[8:9], v2, off
	v_lshrrev_b32_e32 v2, 2, v21
	v_lshlrev_b32_e32 v10, v10, v16
	v_and_or_b32 v4, 0x8000, v23, v20
	s_or_b32 vcc_lo, s0, vcc_lo
	v_and_b32_e32 v6, 0xffff, v26
	s_wait_alu 0xfffe
	v_add_co_ci_u32_e32 v2, vcc_lo, 0, v2, vcc_lo
	v_cmp_ne_u32_e32 vcc_lo, v10, v27
	v_add_nc_u32_e32 v10, 0xfffffc10, v24
	v_lshl_or_b32 v20, v4, 16, v6
	v_lshrrev_b32_e32 v6, 16, v7
	v_and_or_b32 v14, 0x1ff, v15, v14
	s_wait_alu 0xfffd
	v_cndmask_b32_e64 v4, 0, 1, vcc_lo
	v_cmp_gt_i32_e32 vcc_lo, 31, v22
	v_mul_f64_e32 v[12:13], s[8:9], v[12:13]
	v_bfe_u32 v21, v15, 20, 11
	s_delay_alu instid0(VALU_DEP_4)
	v_or_b32_e32 v4, v16, v4
	s_wait_alu 0xfffd
	v_cndmask_b32_e32 v2, 0x7c00, v2, vcc_lo
	v_cmp_ne_u32_e32 vcc_lo, 0, v18
	v_lshl_or_b32 v16, v10, 12, v0
	v_mul_f16_e32 v18, v39, v6
	s_wait_alu 0xfffd
	v_cndmask_b32_e64 v17, 0, 1, vcc_lo
	v_cmp_gt_i32_e32 vcc_lo, 1, v10
	s_delay_alu instid0(VALU_DEP_3) | instskip(SKIP_1) | instid1(VALU_DEP_4)
	v_fmac_f16_e32 v18, v38, v7
	v_mul_f16_e32 v7, v39, v7
	v_lshl_or_b32 v24, v17, 9, 0x7c00
	s_wait_alu 0xfffd
	v_cndmask_b32_e32 v4, v16, v4, vcc_lo
	v_cmp_ne_u32_e32 vcc_lo, 0, v14
	v_lshrrev_b32_e32 v16, 8, v15
	v_cvt_f32_f16_e32 v17, v18
	v_sub_nc_u32_e32 v18, 0x3f1, v21
	v_and_b32_e32 v23, 7, v4
	s_wait_alu 0xfffd
	v_cndmask_b32_e64 v14, 0, 1, vcc_lo
	v_lshrrev_b32_e32 v4, 2, v4
	v_fma_f16 v6, v38, v6, -v7
	v_med3_i32 v18, v18, 0, 13
	v_cmp_lt_i32_e32 vcc_lo, 5, v23
	v_and_or_b32 v14, 0xffe, v16, v14
	v_cvt_f64_f32_e32 v[16:17], v17
	v_cmp_eq_u32_e64 s0, 3, v23
	v_cndmask_b32_e64 v2, v2, v24, s1
	v_cvt_f32_f16_e32 v6, v6
	v_or_b32_e32 v23, 0x1000, v14
	v_lshrrev_b32_e32 v15, 16, v15
	s_or_b32 vcc_lo, s0, vcc_lo
	v_and_or_b32 v2, 0x8000, v19, v2
	s_wait_alu 0xfffe
	v_add_co_ci_u32_e32 v4, vcc_lo, 0, v4, vcc_lo
	v_lshrrev_b32_e32 v22, v18, v23
	v_cmp_gt_i32_e32 vcc_lo, 31, v10
	v_and_or_b32 v7, 0x1ff, v13, v12
	v_and_b32_e32 v2, 0xffff, v2
	v_mul_f16_e32 v24, v37, v5
	v_lshlrev_b32_e32 v18, v18, v22
	s_wait_alu 0xfffd
	v_cndmask_b32_e32 v4, 0x7c00, v4, vcc_lo
	s_delay_alu instid0(VALU_DEP_2)
	v_cmp_ne_u32_e32 vcc_lo, v18, v23
	v_add_nc_u32_e32 v18, 0xfffffc10, v21
	v_lshrrev_b32_e32 v21, 8, v13
	v_bfe_u32 v23, v13, 20, 11
	s_wait_alu 0xfffd
	v_cndmask_b32_e64 v12, 0, 1, vcc_lo
	v_cmp_ne_u32_e32 vcc_lo, 0, v7
	v_cvt_f64_f32_e32 v[6:7], v6
	s_delay_alu instid0(VALU_DEP_3) | instskip(SKIP_4) | instid1(VALU_DEP_3)
	v_or_b32_e32 v12, v22, v12
	s_wait_alu 0xfffd
	v_cndmask_b32_e64 v19, 0, 1, vcc_lo
	v_cmp_ne_u32_e32 vcc_lo, 0, v0
	v_lshl_or_b32 v22, v18, 12, v14
	v_and_or_b32 v19, 0xffe, v21, v19
	s_wait_alu 0xfffd
	v_cndmask_b32_e64 v0, 0, 1, vcc_lo
	v_sub_nc_u32_e32 v21, 0x3f1, v23
	v_cmp_gt_i32_e32 vcc_lo, 1, v18
	v_mul_f64_e32 v[16:17], s[8:9], v[16:17]
	s_delay_alu instid0(VALU_DEP_4) | instskip(NEXT) | instid1(VALU_DEP_4)
	v_lshl_or_b32 v0, v0, 9, 0x7c00
	v_med3_i32 v21, v21, 0, 13
	s_wait_alu 0xfffd
	v_cndmask_b32_e32 v12, v22, v12, vcc_lo
	v_or_b32_e32 v22, 0x1000, v19
	v_cmp_eq_u32_e32 vcc_lo, 0x40f, v10
	s_delay_alu instid0(VALU_DEP_3)
	v_and_b32_e32 v10, 7, v12
	s_wait_alu 0xfffd
	v_cndmask_b32_e32 v0, v4, v0, vcc_lo
	v_lshrrev_b32_e32 v4, 16, v11
	v_lshrrev_b32_e32 v11, v21, v22
	v_add_co_u32 v8, vcc_lo, v8, s2
	s_wait_alu 0xfffd
	v_add_co_ci_u32_e32 v9, vcc_lo, s3, v9, vcc_lo
	v_and_or_b32 v0, 0x8000, v4, v0
	v_lshlrev_b32_e32 v4, v21, v11
	v_cmp_lt_i32_e32 vcc_lo, 5, v10
	v_cmp_eq_u32_e64 s0, 3, v10
	v_lshrrev_b32_e32 v10, 2, v12
	v_add_nc_u32_e32 v12, 0xfffffc10, v23
	v_cmp_ne_u32_e64 s1, v4, v22
	v_lshrrev_b32_e32 v21, 16, v5
	s_or_b32 vcc_lo, s0, vcc_lo
	v_mul_f64_e32 v[6:7], s[8:9], v[6:7]
	s_wait_alu 0xfffe
	v_add_co_ci_u32_e32 v10, vcc_lo, 0, v10, vcc_lo
	v_cndmask_b32_e64 v4, 0, 1, s1
	v_cmp_ne_u32_e32 vcc_lo, 0, v14
	v_lshl_or_b32 v0, v0, 16, v2
	s_delay_alu instid0(VALU_DEP_3) | instskip(SKIP_4) | instid1(VALU_DEP_2)
	v_or_b32_e32 v4, v11, v4
	v_lshl_or_b32 v11, v12, 12, v19
	s_wait_alu 0xfffd
	v_cndmask_b32_e64 v14, 0, 1, vcc_lo
	v_cmp_gt_i32_e32 vcc_lo, 1, v12
	v_lshl_or_b32 v14, v14, 9, 0x7c00
	s_wait_alu 0xfffd
	v_cndmask_b32_e32 v4, v11, v4, vcc_lo
	v_mul_f16_e32 v11, v37, v21
	v_cmp_gt_i32_e32 vcc_lo, 31, v18
	s_delay_alu instid0(VALU_DEP_3) | instskip(NEXT) | instid1(VALU_DEP_3)
	v_and_b32_e32 v2, 7, v4
	v_fmac_f16_e32 v11, v36, v5
	s_wait_alu 0xfffd
	v_cndmask_b32_e32 v10, 0x7c00, v10, vcc_lo
	v_cmp_eq_u32_e32 vcc_lo, 0x40f, v18
	v_bfe_u32 v18, v17, 20, 11
	v_cmp_eq_u32_e64 s0, 3, v2
	v_cvt_f32_f16_e32 v11, v11
	s_wait_alu 0xfffd
	v_cndmask_b32_e32 v14, v10, v14, vcc_lo
	v_and_or_b32 v10, 0x1ff, v17, v16
	v_cmp_lt_i32_e32 vcc_lo, 5, v2
	v_lshrrev_b32_e32 v2, 2, v4
	v_lshrrev_b32_e32 v16, 8, v17
	v_and_or_b32 v14, 0x8000, v15, v14
	v_cmp_ne_u32_e64 s1, 0, v10
	v_cvt_f64_f32_e32 v[10:11], v11
	s_or_b32 vcc_lo, s0, vcc_lo
	v_and_or_b32 v6, 0x1ff, v7, v6
	s_wait_alu 0xfffe
	v_add_co_ci_u32_e32 v2, vcc_lo, 0, v2, vcc_lo
	v_cndmask_b32_e64 v4, 0, 1, s1
	v_cmp_ne_u32_e32 vcc_lo, 0, v19
	v_lshrrev_b32_e32 v15, 8, v7
	v_and_b32_e32 v14, 0xffff, v14
	v_lshrrev_b32_e32 v17, 16, v17
	v_and_or_b32 v16, 0xffe, v16, v4
	v_sub_nc_u32_e32 v4, 0x3f1, v18
	s_wait_alu 0xfffd
	v_cndmask_b32_e64 v19, 0, 1, vcc_lo
	v_cmp_gt_i32_e32 vcc_lo, 31, v12
	v_add_nc_u32_e32 v18, 0xfffffc10, v18
	v_or_b32_e32 v22, 0x1000, v16
	v_med3_i32 v4, v4, 0, 13
	v_lshl_or_b32 v19, v19, 9, 0x7c00
	s_wait_alu 0xfffd
	v_cndmask_b32_e32 v2, 0x7c00, v2, vcc_lo
	v_cmp_eq_u32_e32 vcc_lo, 0x40f, v12
	v_cmp_ne_u32_e64 s1, 0, v16
	v_lshrrev_b32_e32 v23, v4, v22
	s_wait_alu 0xfffd
	v_cndmask_b32_e32 v2, v2, v19, vcc_lo
	v_add_co_u32 v12, vcc_lo, v8, s2
	v_lshrrev_b32_e32 v19, 16, v13
	s_wait_alu 0xfffd
	v_add_co_ci_u32_e32 v13, vcc_lo, s3, v9, vcc_lo
	v_lshlrev_b32_e32 v4, v4, v23
	v_cmp_ne_u32_e32 vcc_lo, 0, v6
	v_and_or_b32 v2, 0x8000, v19, v2
	v_bfe_u32 v19, v7, 20, 11
	s_clause 0x1
	global_store_b32 v[8:9], v20, off
	global_store_b32 v[12:13], v0, off
	s_wait_alu 0xfffd
	v_cndmask_b32_e64 v6, 0, 1, vcc_lo
	v_cmp_ne_u32_e32 vcc_lo, v4, v22
	v_mul_f64_e32 v[4:5], s[8:9], v[10:11]
	v_fma_f16 v10, v36, v21, -v24
	v_lshl_or_b32 v21, v18, 12, v16
	v_and_or_b32 v6, 0xffe, v15, v6
	s_wait_alu 0xfffd
	v_cndmask_b32_e64 v22, 0, 1, vcc_lo
	v_sub_nc_u32_e32 v15, 0x3f1, v19
	v_cvt_f32_f16_e32 v10, v10
	v_cmp_gt_i32_e32 vcc_lo, 1, v18
	v_lshl_or_b32 v20, v2, 16, v14
	v_or_b32_e32 v11, v23, v22
	v_or_b32_e32 v22, 0x1000, v6
	v_med3_i32 v15, v15, 0, 13
	v_lshrrev_b32_e32 v14, 16, v3
	s_wait_alu 0xf1ff
	v_cndmask_b32_e64 v16, 0, 1, s1
	s_wait_alu 0xfffd
	v_cndmask_b32_e32 v21, v21, v11, vcc_lo
	v_cvt_f64_f32_e32 v[10:11], v10
	v_lshrrev_b32_e32 v23, v15, v22
	v_add_co_u32 v8, vcc_lo, v12, s2
	s_delay_alu instid0(VALU_DEP_4) | instskip(SKIP_1) | instid1(VALU_DEP_4)
	v_and_b32_e32 v0, 7, v21
	v_mul_f16_e32 v12, v35, v14
	v_lshlrev_b32_e32 v2, v15, v23
	s_wait_alu 0xfffd
	v_add_co_ci_u32_e32 v9, vcc_lo, s3, v13, vcc_lo
	v_cmp_lt_i32_e32 vcc_lo, 5, v0
	v_add_nc_u32_e32 v15, 0xfffffc10, v19
	v_cmp_ne_u32_e64 s0, v2, v22
	v_fmac_f16_e32 v12, v34, v3
	v_lshl_or_b32 v16, v16, 9, 0x7c00
	v_mul_f16_e32 v3, v35, v3
	v_lshl_or_b32 v13, v15, 12, v6
	s_wait_alu 0xf1ff
	v_cndmask_b32_e64 v2, 0, 1, s0
	v_cmp_eq_u32_e64 s0, 3, v0
	v_lshrrev_b32_e32 v0, 2, v21
	v_cvt_f32_f16_e32 v12, v12
	s_delay_alu instid0(VALU_DEP_4) | instskip(NEXT) | instid1(VALU_DEP_4)
	v_or_b32_e32 v2, v23, v2
	s_or_b32 vcc_lo, s0, vcc_lo
	v_and_or_b32 v4, 0x1ff, v5, v4
	s_wait_alu 0xfffe
	v_add_co_ci_u32_e32 v0, vcc_lo, 0, v0, vcc_lo
	v_cmp_gt_i32_e32 vcc_lo, 1, v15
	v_lshrrev_b32_e32 v21, 8, v5
	v_bfe_u32 v22, v5, 20, 11
	v_lshrrev_b32_e32 v5, 16, v5
	s_wait_alu 0xfffd
	v_cndmask_b32_e32 v2, v13, v2, vcc_lo
	v_cvt_f64_f32_e32 v[12:13], v12
	v_cmp_gt_i32_e32 vcc_lo, 31, v18
	s_delay_alu instid0(VALU_DEP_3)
	v_and_b32_e32 v19, 7, v2
	v_lshrrev_b32_e32 v2, 2, v2
	s_wait_alu 0xfffd
	v_cndmask_b32_e32 v0, 0x7c00, v0, vcc_lo
	v_cmp_ne_u32_e32 vcc_lo, 0, v4
	v_mul_f64_e32 v[10:11], s[8:9], v[10:11]
	v_cmp_eq_u32_e64 s0, 3, v19
	s_wait_alu 0xfffd
	v_cndmask_b32_e64 v4, 0, 1, vcc_lo
	v_cmp_lt_i32_e32 vcc_lo, 5, v19
	v_sub_nc_u32_e32 v19, 0x3f1, v22
	s_delay_alu instid0(VALU_DEP_3) | instskip(SKIP_1) | instid1(VALU_DEP_2)
	v_and_or_b32 v4, 0xffe, v21, v4
	s_or_b32 vcc_lo, s0, vcc_lo
	v_med3_i32 v19, v19, 0, 13
	s_wait_alu 0xfffe
	v_add_co_ci_u32_e32 v2, vcc_lo, 0, v2, vcc_lo
	v_cmp_ne_u32_e32 vcc_lo, 0, v6
	v_or_b32_e32 v21, 0x1000, v4
	s_mul_i32 s0, s5, 0xfffff4c0
	s_wait_alu 0xfffe
	s_sub_co_i32 s1, s0, s4
	s_wait_alu 0xfffd
	v_cndmask_b32_e64 v6, 0, 1, vcc_lo
	v_cmp_gt_i32_e32 vcc_lo, 31, v15
	v_lshrrev_b32_e32 v23, v19, v21
	s_delay_alu instid0(VALU_DEP_3)
	v_lshl_or_b32 v6, v6, 9, 0x7c00
	s_wait_alu 0xfffd
	v_cndmask_b32_e32 v2, 0x7c00, v2, vcc_lo
	v_cmp_eq_u32_e32 vcc_lo, 0x40f, v18
	v_add_nc_u32_e32 v18, 0xfffffc10, v22
	s_wait_alu 0xfffd
	v_cndmask_b32_e32 v0, v0, v16, vcc_lo
	v_lshlrev_b32_e32 v16, v19, v23
	v_cmp_eq_u32_e32 vcc_lo, 0x40f, v15
	v_lshrrev_b32_e32 v15, 16, v7
	s_delay_alu instid0(VALU_DEP_4)
	v_and_or_b32 v0, 0x8000, v17, v0
	s_wait_alu 0xfffd
	v_cndmask_b32_e32 v2, v2, v6, vcc_lo
	v_cmp_ne_u32_e32 vcc_lo, v16, v21
	v_mul_f64_e32 v[6:7], s[8:9], v[12:13]
	v_lshl_or_b32 v13, v18, 12, v4
	v_and_or_b32 v10, 0x1ff, v11, v10
	v_and_b32_e32 v17, 0xffff, v0
	s_wait_alu 0xfffd
	v_cndmask_b32_e64 v16, 0, 1, vcc_lo
	v_cmp_gt_i32_e32 vcc_lo, 1, v18
	v_lshrrev_b32_e32 v21, 16, v1
	v_bfe_u32 v19, v11, 20, 11
	s_delay_alu instid0(VALU_DEP_4)
	v_or_b32_e32 v12, v23, v16
	v_and_or_b32 v16, 0x8000, v15, v2
	v_fma_f16 v2, v34, v14, -v3
	v_lshrrev_b32_e32 v15, 8, v11
	v_mul_f16_e32 v22, v33, v21
	s_wait_alu 0xfffd
	v_cndmask_b32_e32 v0, v13, v12, vcc_lo
	v_cmp_ne_u32_e32 vcc_lo, 0, v10
	v_cvt_f32_f16_e32 v12, v2
	v_mad_co_u64_u32 v[2:3], null, 0xfffff4c0, s4, v[8:9]
	s_delay_alu instid0(VALU_DEP_4)
	v_and_b32_e32 v14, 7, v0
	s_wait_alu 0xfffd
	v_cndmask_b32_e64 v10, 0, 1, vcc_lo
	v_cvt_f64_f32_e32 v[12:13], v12
	v_lshrrev_b32_e32 v0, 2, v0
	v_fmac_f16_e32 v22, v32, v1
	v_cmp_lt_i32_e32 vcc_lo, 5, v14
	v_cmp_eq_u32_e64 s0, 3, v14
	v_and_or_b32 v10, 0xffe, v15, v10
	v_sub_nc_u32_e32 v15, 0x3f1, v19
	v_cvt_f32_f16_e32 v14, v22
	v_mul_f16_e32 v1, v33, v1
	s_or_b32 vcc_lo, s0, vcc_lo
	v_or_b32_e32 v23, 0x1000, v10
	s_wait_alu 0xfffe
	v_add_co_ci_u32_e32 v0, vcc_lo, 0, v0, vcc_lo
	v_med3_i32 v24, v15, 0, 13
	v_cmp_ne_u32_e32 vcc_lo, 0, v4
	v_cvt_f64_f32_e32 v[14:15], v14
	v_fma_f16 v21, v32, v21, -v1
	v_and_or_b32 v6, 0x1ff, v7, v6
	v_lshrrev_b32_e32 v22, v24, v23
	s_wait_alu 0xfffd
	v_cndmask_b32_e64 v4, 0, 1, vcc_lo
	v_cmp_gt_i32_e32 vcc_lo, 31, v18
	v_add_nc_u32_e32 v19, 0xfffffc10, v19
	v_bfe_u32 v26, v7, 20, 11
	v_lshl_or_b32 v16, v16, 16, v17
	v_lshl_or_b32 v4, v4, 9, 0x7c00
	s_wait_alu 0xfffd
	v_dual_cndmask_b32 v25, 0x7c00, v0 :: v_dual_lshlrev_b32 v0, v24, v22
	v_cmp_ne_u32_e32 vcc_lo, 0, v6
	v_lshrrev_b32_e32 v24, 8, v7
	v_add_nc_u32_e32 v3, s1, v3
	v_lshrrev_b32_e32 v7, 16, v7
	s_wait_alu 0xfffd
	v_cndmask_b32_e64 v6, 0, 1, vcc_lo
	v_cmp_ne_u32_e32 vcc_lo, v0, v23
	s_delay_alu instid0(VALU_DEP_2)
	v_and_or_b32 v6, 0xffe, v24, v6
	s_wait_alu 0xfffd
	v_cndmask_b32_e64 v23, 0, 1, vcc_lo
	v_mul_f64_e32 v[0:1], s[8:9], v[12:13]
	v_cvt_f32_f16_e32 v13, v21
	v_cmp_gt_i32_e32 vcc_lo, 1, v19
	v_sub_nc_u32_e32 v12, 0x3f1, v26
	v_or_b32_e32 v21, v22, v23
	v_lshl_or_b32 v22, v19, 12, v10
	v_or_b32_e32 v23, 0x1000, v6
	s_delay_alu instid0(VALU_DEP_4)
	v_med3_i32 v24, v12, 0, 13
	v_cvt_f64_f32_e32 v[12:13], v13
	s_wait_alu 0xfffd
	v_cndmask_b32_e32 v21, v22, v21, vcc_lo
	v_cmp_eq_u32_e32 vcc_lo, 0x40f, v18
	v_lshrrev_b32_e32 v18, v24, v23
	s_delay_alu instid0(VALU_DEP_3)
	v_and_b32_e32 v22, 7, v21
	s_wait_alu 0xfffd
	v_cndmask_b32_e32 v4, v25, v4, vcc_lo
	v_lshrrev_b32_e32 v21, 2, v21
	v_lshlrev_b32_e32 v17, v24, v18
	v_cmp_lt_i32_e32 vcc_lo, 5, v22
	v_cmp_eq_u32_e64 s0, 3, v22
	v_and_or_b32 v24, 0x8000, v5, v4
	v_mul_f64_e32 v[4:5], s[8:9], v[14:15]
	v_cmp_ne_u32_e64 s1, v17, v23
	v_add_nc_u32_e32 v22, 0xfffffc10, v26
	s_or_b32 vcc_lo, s0, vcc_lo
	s_wait_alu 0xfffe
	v_add_co_ci_u32_e32 v14, vcc_lo, 0, v21, vcc_lo
	v_cmp_ne_u32_e32 vcc_lo, 0, v10
	v_cndmask_b32_e64 v17, 0, 1, s1
	s_wait_alu 0xfffd
	v_cndmask_b32_e64 v10, 0, 1, vcc_lo
	v_cmp_gt_i32_e32 vcc_lo, 31, v19
	s_delay_alu instid0(VALU_DEP_3)
	v_or_b32_e32 v15, v18, v17
	v_lshl_or_b32 v17, v22, 12, v6
	v_and_or_b32 v0, 0x1ff, v1, v0
	v_lshl_or_b32 v10, v10, 9, 0x7c00
	s_wait_alu 0xfffd
	v_cndmask_b32_e32 v14, 0x7c00, v14, vcc_lo
	v_cmp_gt_i32_e32 vcc_lo, 1, v22
	s_wait_alu 0xfffd
	v_cndmask_b32_e32 v15, v17, v15, vcc_lo
	v_cmp_eq_u32_e32 vcc_lo, 0x40f, v19
	v_lshrrev_b32_e32 v17, 16, v11
	v_lshrrev_b32_e32 v19, 8, v1
	s_delay_alu instid0(VALU_DEP_4)
	v_and_b32_e32 v18, 7, v15
	s_wait_alu 0xfffd
	v_cndmask_b32_e32 v14, v14, v10, vcc_lo
	v_cmp_ne_u32_e32 vcc_lo, 0, v0
	v_mul_f64_e32 v[10:11], s[8:9], v[12:13]
	v_bfe_u32 v12, v1, 20, 11
	v_cmp_eq_u32_e64 s0, 3, v18
	v_and_or_b32 v13, 0x8000, v17, v14
	v_and_b32_e32 v14, 0xffff, v24
	s_wait_alu 0xfffd
	v_cndmask_b32_e64 v0, 0, 1, vcc_lo
	v_cmp_lt_i32_e32 vcc_lo, 5, v18
	v_sub_nc_u32_e32 v17, 0x3f1, v12
	v_and_or_b32 v4, 0x1ff, v5, v4
	v_lshl_or_b32 v13, v13, 16, v14
	v_lshrrev_b32_e32 v14, 2, v15
	v_and_or_b32 v0, 0xffe, v19, v0
	s_or_b32 vcc_lo, s0, vcc_lo
	v_med3_i32 v17, v17, 0, 13
	v_lshrrev_b32_e32 v19, 8, v5
	s_wait_alu 0xfffe
	v_add_co_ci_u32_e32 v14, vcc_lo, 0, v14, vcc_lo
	v_or_b32_e32 v15, 0x1000, v0
	v_cmp_ne_u32_e32 vcc_lo, 0, v6
	v_bfe_u32 v21, v5, 20, 11
	v_add_nc_u32_e32 v12, 0xfffffc10, v12
	v_lshrrev_b32_e32 v1, 16, v1
	v_lshrrev_b32_e32 v18, v17, v15
	s_wait_alu 0xfffd
	v_cndmask_b32_e64 v6, 0, 1, vcc_lo
	v_cmp_gt_i32_e32 vcc_lo, 31, v22
	v_lshrrev_b32_e32 v5, 16, v5
	v_lshlrev_b32_e32 v17, v17, v18
	s_delay_alu instid0(VALU_DEP_4)
	v_lshl_or_b32 v6, v6, 9, 0x7c00
	s_wait_alu 0xfffd
	v_cndmask_b32_e32 v14, 0x7c00, v14, vcc_lo
	v_cmp_ne_u32_e32 vcc_lo, 0, v4
	s_wait_alu 0xfffd
	v_cndmask_b32_e64 v4, 0, 1, vcc_lo
	v_cmp_ne_u32_e32 vcc_lo, v17, v15
	v_sub_nc_u32_e32 v17, 0x3f1, v21
	v_and_or_b32 v10, 0x1ff, v11, v10
	s_delay_alu instid0(VALU_DEP_4)
	v_and_or_b32 v4, 0xffe, v19, v4
	s_wait_alu 0xfffd
	v_cndmask_b32_e64 v15, 0, 1, vcc_lo
	v_cmp_eq_u32_e32 vcc_lo, 0x40f, v22
	v_med3_i32 v17, v17, 0, 13
	v_lshrrev_b32_e32 v19, 8, v11
	v_bfe_u32 v22, v11, 20, 11
	s_wait_alu 0xfffd
	v_cndmask_b32_e32 v6, v14, v6, vcc_lo
	v_or_b32_e32 v14, v18, v15
	v_lshl_or_b32 v15, v12, 12, v0
	v_or_b32_e32 v18, 0x1000, v4
	v_cmp_gt_i32_e32 vcc_lo, 1, v12
	v_and_or_b32 v6, 0x8000, v7, v6
	s_wait_alu 0xfffd
	v_cndmask_b32_e32 v14, v15, v14, vcc_lo
	v_lshrrev_b32_e32 v15, v17, v18
	v_cmp_ne_u32_e32 vcc_lo, 0, v10
	v_and_b32_e32 v6, 0xffff, v6
	s_delay_alu instid0(VALU_DEP_4) | instskip(NEXT) | instid1(VALU_DEP_4)
	v_and_b32_e32 v23, 7, v14
	v_lshlrev_b32_e32 v17, v17, v15
	s_wait_alu 0xfffd
	v_cndmask_b32_e64 v10, 0, 1, vcc_lo
	v_lshrrev_b32_e32 v14, 2, v14
	v_cmp_lt_i32_e32 vcc_lo, 5, v23
	v_cmp_ne_u32_e64 s0, v17, v18
	s_delay_alu instid0(VALU_DEP_4)
	v_and_or_b32 v7, 0xffe, v19, v10
	v_sub_nc_u32_e32 v10, 0x3f1, v22
	v_add_nc_u32_e32 v19, 0xfffffc10, v21
	s_wait_alu 0xf1ff
	v_cndmask_b32_e64 v17, 0, 1, s0
	v_cmp_eq_u32_e64 s0, 3, v23
	v_or_b32_e32 v18, 0x1000, v7
	v_med3_i32 v10, v10, 0, 13
	v_lshl_or_b32 v21, v19, 12, v4
	v_or_b32_e32 v15, v15, v17
	s_or_b32 vcc_lo, s0, vcc_lo
	s_wait_alu 0xfffe
	v_add_co_ci_u32_e32 v14, vcc_lo, 0, v14, vcc_lo
	v_lshrrev_b32_e32 v17, v10, v18
	v_cmp_gt_i32_e32 vcc_lo, 1, v19
	s_wait_alu 0xfffd
	s_delay_alu instid0(VALU_DEP_2) | instskip(SKIP_1) | instid1(VALU_DEP_2)
	v_dual_cndmask_b32 v15, v21, v15 :: v_dual_lshlrev_b32 v10, v10, v17
	v_cmp_ne_u32_e32 vcc_lo, 0, v0
	v_and_b32_e32 v21, 7, v15
	s_wait_alu 0xfffd
	v_cndmask_b32_e64 v0, 0, 1, vcc_lo
	v_cmp_ne_u32_e32 vcc_lo, v10, v18
	v_add_nc_u32_e32 v18, 0xfffffc10, v22
	v_cmp_eq_u32_e64 s0, 3, v21
	s_delay_alu instid0(VALU_DEP_4) | instskip(SKIP_4) | instid1(VALU_DEP_3)
	v_lshl_or_b32 v0, v0, 9, 0x7c00
	s_wait_alu 0xfffd
	v_cndmask_b32_e64 v10, 0, 1, vcc_lo
	v_cmp_gt_i32_e32 vcc_lo, 31, v12
	v_cmp_gt_i32_e64 s1, 1, v18
	v_or_b32_e32 v10, v17, v10
	v_lshl_or_b32 v17, v18, 12, v7
	s_wait_alu 0xfffd
	v_cndmask_b32_e32 v14, 0x7c00, v14, vcc_lo
	v_cmp_lt_i32_e32 vcc_lo, 5, v21
	s_wait_alu 0xf1ff
	v_cndmask_b32_e64 v10, v17, v10, s1
	v_cmp_eq_u32_e64 s1, 0x40f, v12
	v_lshrrev_b32_e32 v12, 2, v15
	s_or_b32 vcc_lo, s0, vcc_lo
	s_delay_alu instid0(VALU_DEP_2) | instskip(SKIP_1) | instid1(VALU_DEP_2)
	v_cndmask_b32_e64 v0, v14, v0, s1
	s_wait_alu 0xfffe
	v_add_co_ci_u32_e32 v12, vcc_lo, 0, v12, vcc_lo
	v_and_b32_e32 v14, 7, v10
	v_cmp_ne_u32_e32 vcc_lo, 0, v4
	v_lshrrev_b32_e32 v10, 2, v10
	v_cmp_gt_i32_e64 s1, 31, v19
	s_delay_alu instid0(VALU_DEP_4)
	v_cmp_eq_u32_e64 s0, 3, v14
	s_wait_alu 0xfffd
	v_cndmask_b32_e64 v4, 0, 1, vcc_lo
	v_cmp_lt_i32_e32 vcc_lo, 5, v14
	s_wait_alu 0xf1ff
	v_cndmask_b32_e64 v12, 0x7c00, v12, s1
	s_delay_alu instid0(VALU_DEP_3)
	v_lshl_or_b32 v4, v4, 9, 0x7c00
	s_or_b32 vcc_lo, s0, vcc_lo
	s_wait_alu 0xfffe
	v_add_co_ci_u32_e32 v10, vcc_lo, 0, v10, vcc_lo
	v_cmp_ne_u32_e32 vcc_lo, 0, v7
	s_wait_alu 0xfffd
	v_cndmask_b32_e64 v7, 0, 1, vcc_lo
	v_cmp_eq_u32_e32 vcc_lo, 0x40f, v19
	s_delay_alu instid0(VALU_DEP_2) | instskip(SKIP_4) | instid1(VALU_DEP_3)
	v_lshl_or_b32 v7, v7, 9, 0x7c00
	s_wait_alu 0xfffd
	v_cndmask_b32_e32 v4, v12, v4, vcc_lo
	v_cmp_gt_i32_e32 vcc_lo, 31, v18
	v_and_or_b32 v12, 0x8000, v1, v0
	v_and_or_b32 v4, 0x8000, v5, v4
	s_wait_alu 0xfffd
	v_cndmask_b32_e32 v10, 0x7c00, v10, vcc_lo
	v_cmp_eq_u32_e32 vcc_lo, 0x40f, v18
	s_wait_alu 0xfffd
	s_delay_alu instid0(VALU_DEP_2)
	v_cndmask_b32_e32 v5, v10, v7, vcc_lo
	v_lshrrev_b32_e32 v7, 16, v11
	v_add_co_u32 v0, vcc_lo, v2, s2
	s_wait_alu 0xfffd
	v_add_co_ci_u32_e32 v1, vcc_lo, s3, v3, vcc_lo
	v_lshl_or_b32 v10, v12, 16, v6
	v_and_or_b32 v6, 0x8000, v7, v5
	v_and_b32_e32 v7, 0xffff, v4
	v_add_co_u32 v4, vcc_lo, v0, s2
	s_wait_alu 0xfffd
	v_add_co_ci_u32_e32 v5, vcc_lo, s3, v1, vcc_lo
	s_delay_alu instid0(VALU_DEP_3) | instskip(NEXT) | instid1(VALU_DEP_3)
	v_lshl_or_b32 v11, v6, 16, v7
	v_add_co_u32 v6, vcc_lo, v4, s2
	s_wait_alu 0xfffd
	s_delay_alu instid0(VALU_DEP_3)
	v_add_co_ci_u32_e32 v7, vcc_lo, s3, v5, vcc_lo
	s_clause 0x1
	global_store_b32 v[8:9], v20, off
	global_store_b32 v[2:3], v16, off
	;; [unrolled: 1-line block ×5, first 2 shown]
.LBB0_18:
	s_nop 0
	s_sendmsg sendmsg(MSG_DEALLOC_VGPRS)
	s_endpgm
	.section	.rodata,"a",@progbits
	.p2align	6, 0x0
	.amdhsa_kernel bluestein_single_fwd_len1152_dim1_half_op_CI_CI
		.amdhsa_group_segment_fixed_size 4608
		.amdhsa_private_segment_fixed_size 0
		.amdhsa_kernarg_size 104
		.amdhsa_user_sgpr_count 2
		.amdhsa_user_sgpr_dispatch_ptr 0
		.amdhsa_user_sgpr_queue_ptr 0
		.amdhsa_user_sgpr_kernarg_segment_ptr 1
		.amdhsa_user_sgpr_dispatch_id 0
		.amdhsa_user_sgpr_private_segment_size 0
		.amdhsa_wavefront_size32 1
		.amdhsa_uses_dynamic_stack 0
		.amdhsa_enable_private_segment 0
		.amdhsa_system_sgpr_workgroup_id_x 1
		.amdhsa_system_sgpr_workgroup_id_y 0
		.amdhsa_system_sgpr_workgroup_id_z 0
		.amdhsa_system_sgpr_workgroup_info 0
		.amdhsa_system_vgpr_workitem_id 0
		.amdhsa_next_free_vgpr 110
		.amdhsa_next_free_sgpr 20
		.amdhsa_reserve_vcc 1
		.amdhsa_float_round_mode_32 0
		.amdhsa_float_round_mode_16_64 0
		.amdhsa_float_denorm_mode_32 3
		.amdhsa_float_denorm_mode_16_64 3
		.amdhsa_fp16_overflow 0
		.amdhsa_workgroup_processor_mode 1
		.amdhsa_memory_ordered 1
		.amdhsa_forward_progress 0
		.amdhsa_round_robin_scheduling 0
		.amdhsa_exception_fp_ieee_invalid_op 0
		.amdhsa_exception_fp_denorm_src 0
		.amdhsa_exception_fp_ieee_div_zero 0
		.amdhsa_exception_fp_ieee_overflow 0
		.amdhsa_exception_fp_ieee_underflow 0
		.amdhsa_exception_fp_ieee_inexact 0
		.amdhsa_exception_int_div_zero 0
	.end_amdhsa_kernel
	.text
.Lfunc_end0:
	.size	bluestein_single_fwd_len1152_dim1_half_op_CI_CI, .Lfunc_end0-bluestein_single_fwd_len1152_dim1_half_op_CI_CI
                                        ; -- End function
	.section	.AMDGPU.csdata,"",@progbits
; Kernel info:
; codeLenInByte = 13516
; NumSgprs: 22
; NumVgprs: 110
; ScratchSize: 0
; MemoryBound: 0
; FloatMode: 240
; IeeeMode: 1
; LDSByteSize: 4608 bytes/workgroup (compile time only)
; SGPRBlocks: 2
; VGPRBlocks: 13
; NumSGPRsForWavesPerEU: 22
; NumVGPRsForWavesPerEU: 110
; Occupancy: 12
; WaveLimiterHint : 1
; COMPUTE_PGM_RSRC2:SCRATCH_EN: 0
; COMPUTE_PGM_RSRC2:USER_SGPR: 2
; COMPUTE_PGM_RSRC2:TRAP_HANDLER: 0
; COMPUTE_PGM_RSRC2:TGID_X_EN: 1
; COMPUTE_PGM_RSRC2:TGID_Y_EN: 0
; COMPUTE_PGM_RSRC2:TGID_Z_EN: 0
; COMPUTE_PGM_RSRC2:TIDIG_COMP_CNT: 0
	.text
	.p2alignl 7, 3214868480
	.fill 96, 4, 3214868480
	.type	__hip_cuid_fab2367f2c30318c,@object ; @__hip_cuid_fab2367f2c30318c
	.section	.bss,"aw",@nobits
	.globl	__hip_cuid_fab2367f2c30318c
__hip_cuid_fab2367f2c30318c:
	.byte	0                               ; 0x0
	.size	__hip_cuid_fab2367f2c30318c, 1

	.ident	"AMD clang version 19.0.0git (https://github.com/RadeonOpenCompute/llvm-project roc-6.4.0 25133 c7fe45cf4b819c5991fe208aaa96edf142730f1d)"
	.section	".note.GNU-stack","",@progbits
	.addrsig
	.addrsig_sym __hip_cuid_fab2367f2c30318c
	.amdgpu_metadata
---
amdhsa.kernels:
  - .args:
      - .actual_access:  read_only
        .address_space:  global
        .offset:         0
        .size:           8
        .value_kind:     global_buffer
      - .actual_access:  read_only
        .address_space:  global
        .offset:         8
        .size:           8
        .value_kind:     global_buffer
      - .actual_access:  read_only
        .address_space:  global
        .offset:         16
        .size:           8
        .value_kind:     global_buffer
      - .actual_access:  read_only
        .address_space:  global
        .offset:         24
        .size:           8
        .value_kind:     global_buffer
      - .actual_access:  read_only
        .address_space:  global
        .offset:         32
        .size:           8
        .value_kind:     global_buffer
      - .offset:         40
        .size:           8
        .value_kind:     by_value
      - .address_space:  global
        .offset:         48
        .size:           8
        .value_kind:     global_buffer
      - .address_space:  global
        .offset:         56
        .size:           8
        .value_kind:     global_buffer
      - .address_space:  global
        .offset:         64
        .size:           8
        .value_kind:     global_buffer
      - .address_space:  global
        .offset:         72
        .size:           8
        .value_kind:     global_buffer
      - .offset:         80
        .size:           4
        .value_kind:     by_value
      - .address_space:  global
        .offset:         88
        .size:           8
        .value_kind:     global_buffer
      - .address_space:  global
        .offset:         96
        .size:           8
        .value_kind:     global_buffer
    .group_segment_fixed_size: 4608
    .kernarg_segment_align: 8
    .kernarg_segment_size: 104
    .language:       OpenCL C
    .language_version:
      - 2
      - 0
    .max_flat_workgroup_size: 144
    .name:           bluestein_single_fwd_len1152_dim1_half_op_CI_CI
    .private_segment_fixed_size: 0
    .sgpr_count:     22
    .sgpr_spill_count: 0
    .symbol:         bluestein_single_fwd_len1152_dim1_half_op_CI_CI.kd
    .uniform_work_group_size: 1
    .uses_dynamic_stack: false
    .vgpr_count:     110
    .vgpr_spill_count: 0
    .wavefront_size: 32
    .workgroup_processor_mode: 1
amdhsa.target:   amdgcn-amd-amdhsa--gfx1201
amdhsa.version:
  - 1
  - 2
...

	.end_amdgpu_metadata
